;; amdgpu-corpus repo=ROCm/rocFFT kind=compiled arch=gfx1030 opt=O3
	.text
	.amdgcn_target "amdgcn-amd-amdhsa--gfx1030"
	.amdhsa_code_object_version 6
	.protected	fft_rtc_fwd_len952_factors_17_4_2_7_wgs_204_tpt_68_halfLds_half_op_CI_CI_unitstride_sbrr_R2C_dirReg ; -- Begin function fft_rtc_fwd_len952_factors_17_4_2_7_wgs_204_tpt_68_halfLds_half_op_CI_CI_unitstride_sbrr_R2C_dirReg
	.globl	fft_rtc_fwd_len952_factors_17_4_2_7_wgs_204_tpt_68_halfLds_half_op_CI_CI_unitstride_sbrr_R2C_dirReg
	.p2align	8
	.type	fft_rtc_fwd_len952_factors_17_4_2_7_wgs_204_tpt_68_halfLds_half_op_CI_CI_unitstride_sbrr_R2C_dirReg,@function
fft_rtc_fwd_len952_factors_17_4_2_7_wgs_204_tpt_68_halfLds_half_op_CI_CI_unitstride_sbrr_R2C_dirReg: ; @fft_rtc_fwd_len952_factors_17_4_2_7_wgs_204_tpt_68_halfLds_half_op_CI_CI_unitstride_sbrr_R2C_dirReg
; %bb.0:
	s_load_dwordx4 s[12:15], s[4:5], 0x0
	v_mul_u32_u24_e32 v1, 0x3c4, v0
	s_clause 0x1
	s_load_dwordx4 s[8:11], s[4:5], 0x58
	s_load_dwordx4 s[16:19], s[4:5], 0x18
	v_mov_b32_e32 v9, 0
	v_mov_b32_e32 v7, 0
	;; [unrolled: 1-line block ×3, first 2 shown]
	v_lshrrev_b32_e32 v1, 16, v1
	v_mad_u64_u32 v[3:4], null, s6, 3, v[1:2]
	v_mov_b32_e32 v4, v9
	v_mov_b32_e32 v1, v7
	;; [unrolled: 1-line block ×5, first 2 shown]
	s_waitcnt lgkmcnt(0)
	v_cmp_lt_u64_e64 s0, s[14:15], 2
	s_and_b32 vcc_lo, exec_lo, s0
	s_cbranch_vccnz .LBB0_8
; %bb.1:
	s_load_dwordx2 s[0:1], s[4:5], 0x10
	v_mov_b32_e32 v7, 0
	v_mov_b32_e32 v8, 0
	s_add_u32 s2, s18, 8
	v_mov_b32_e32 v12, v4
	s_addc_u32 s3, s19, 0
	v_mov_b32_e32 v1, v7
	v_mov_b32_e32 v11, v3
	s_add_u32 s6, s16, 8
	v_mov_b32_e32 v2, v8
	s_addc_u32 s7, s17, 0
	s_mov_b64 s[22:23], 1
	s_waitcnt lgkmcnt(0)
	s_add_u32 s20, s0, 8
	s_addc_u32 s21, s1, 0
.LBB0_2:                                ; =>This Inner Loop Header: Depth=1
	s_load_dwordx2 s[24:25], s[20:21], 0x0
                                        ; implicit-def: $vgpr5_vgpr6
	s_mov_b32 s0, exec_lo
	s_waitcnt lgkmcnt(0)
	v_or_b32_e32 v10, s25, v12
	v_cmpx_ne_u64_e32 0, v[9:10]
	s_xor_b32 s1, exec_lo, s0
	s_cbranch_execz .LBB0_4
; %bb.3:                                ;   in Loop: Header=BB0_2 Depth=1
	v_cvt_f32_u32_e32 v4, s24
	v_cvt_f32_u32_e32 v5, s25
	s_sub_u32 s0, 0, s24
	s_subb_u32 s26, 0, s25
	v_fmac_f32_e32 v4, 0x4f800000, v5
	v_rcp_f32_e32 v4, v4
	v_mul_f32_e32 v4, 0x5f7ffffc, v4
	v_mul_f32_e32 v5, 0x2f800000, v4
	v_trunc_f32_e32 v5, v5
	v_fmac_f32_e32 v4, 0xcf800000, v5
	v_cvt_u32_f32_e32 v5, v5
	v_cvt_u32_f32_e32 v4, v4
	v_mul_lo_u32 v6, s0, v5
	v_mul_hi_u32 v10, s0, v4
	v_mul_lo_u32 v13, s26, v4
	v_add_nc_u32_e32 v6, v10, v6
	v_mul_lo_u32 v10, s0, v4
	v_add_nc_u32_e32 v6, v6, v13
	v_mul_hi_u32 v13, v4, v10
	v_mul_lo_u32 v14, v4, v6
	v_mul_hi_u32 v15, v4, v6
	v_mul_hi_u32 v16, v5, v10
	v_mul_lo_u32 v10, v5, v10
	v_mul_hi_u32 v17, v5, v6
	v_mul_lo_u32 v6, v5, v6
	v_add_co_u32 v13, vcc_lo, v13, v14
	v_add_co_ci_u32_e32 v14, vcc_lo, 0, v15, vcc_lo
	v_add_co_u32 v10, vcc_lo, v13, v10
	v_add_co_ci_u32_e32 v10, vcc_lo, v14, v16, vcc_lo
	v_add_co_ci_u32_e32 v13, vcc_lo, 0, v17, vcc_lo
	v_add_co_u32 v6, vcc_lo, v10, v6
	v_add_co_ci_u32_e32 v10, vcc_lo, 0, v13, vcc_lo
	v_add_co_u32 v4, vcc_lo, v4, v6
	v_add_co_ci_u32_e32 v5, vcc_lo, v5, v10, vcc_lo
	v_mul_hi_u32 v6, s0, v4
	v_mul_lo_u32 v13, s26, v4
	v_mul_lo_u32 v10, s0, v5
	v_add_nc_u32_e32 v6, v6, v10
	v_mul_lo_u32 v10, s0, v4
	v_add_nc_u32_e32 v6, v6, v13
	v_mul_hi_u32 v13, v4, v10
	v_mul_lo_u32 v14, v4, v6
	v_mul_hi_u32 v15, v4, v6
	v_mul_hi_u32 v16, v5, v10
	v_mul_lo_u32 v10, v5, v10
	v_mul_hi_u32 v17, v5, v6
	v_mul_lo_u32 v6, v5, v6
	v_add_co_u32 v13, vcc_lo, v13, v14
	v_add_co_ci_u32_e32 v14, vcc_lo, 0, v15, vcc_lo
	v_add_co_u32 v10, vcc_lo, v13, v10
	v_add_co_ci_u32_e32 v10, vcc_lo, v14, v16, vcc_lo
	v_add_co_ci_u32_e32 v13, vcc_lo, 0, v17, vcc_lo
	v_add_co_u32 v6, vcc_lo, v10, v6
	v_add_co_ci_u32_e32 v10, vcc_lo, 0, v13, vcc_lo
	v_add_co_u32 v6, vcc_lo, v4, v6
	v_add_co_ci_u32_e32 v10, vcc_lo, v5, v10, vcc_lo
	v_mul_hi_u32 v17, v11, v6
	v_mad_u64_u32 v[13:14], null, v12, v6, 0
	v_mad_u64_u32 v[4:5], null, v11, v10, 0
	;; [unrolled: 1-line block ×3, first 2 shown]
	v_add_co_u32 v4, vcc_lo, v17, v4
	v_add_co_ci_u32_e32 v5, vcc_lo, 0, v5, vcc_lo
	v_add_co_u32 v4, vcc_lo, v4, v13
	v_add_co_ci_u32_e32 v4, vcc_lo, v5, v14, vcc_lo
	v_add_co_ci_u32_e32 v5, vcc_lo, 0, v16, vcc_lo
	v_add_co_u32 v10, vcc_lo, v4, v15
	v_add_co_ci_u32_e32 v6, vcc_lo, 0, v5, vcc_lo
	v_mul_lo_u32 v13, s25, v10
	v_mad_u64_u32 v[4:5], null, s24, v10, 0
	v_mul_lo_u32 v14, s24, v6
	v_sub_co_u32 v4, vcc_lo, v11, v4
	v_add3_u32 v5, v5, v14, v13
	v_sub_nc_u32_e32 v13, v12, v5
	v_subrev_co_ci_u32_e64 v13, s0, s25, v13, vcc_lo
	v_add_co_u32 v14, s0, v10, 2
	v_add_co_ci_u32_e64 v15, s0, 0, v6, s0
	v_sub_co_u32 v16, s0, v4, s24
	v_sub_co_ci_u32_e32 v5, vcc_lo, v12, v5, vcc_lo
	v_subrev_co_ci_u32_e64 v13, s0, 0, v13, s0
	v_cmp_le_u32_e32 vcc_lo, s24, v16
	v_cmp_eq_u32_e64 s0, s25, v5
	v_cndmask_b32_e64 v16, 0, -1, vcc_lo
	v_cmp_le_u32_e32 vcc_lo, s25, v13
	v_cndmask_b32_e64 v17, 0, -1, vcc_lo
	v_cmp_le_u32_e32 vcc_lo, s24, v4
	;; [unrolled: 2-line block ×3, first 2 shown]
	v_cndmask_b32_e64 v18, 0, -1, vcc_lo
	v_cmp_eq_u32_e32 vcc_lo, s25, v13
	v_cndmask_b32_e64 v4, v18, v4, s0
	v_cndmask_b32_e32 v13, v17, v16, vcc_lo
	v_add_co_u32 v16, vcc_lo, v10, 1
	v_add_co_ci_u32_e32 v17, vcc_lo, 0, v6, vcc_lo
	v_cmp_ne_u32_e32 vcc_lo, 0, v13
	v_cndmask_b32_e32 v5, v17, v15, vcc_lo
	v_cndmask_b32_e32 v13, v16, v14, vcc_lo
	v_cmp_ne_u32_e32 vcc_lo, 0, v4
	v_cndmask_b32_e32 v6, v6, v5, vcc_lo
	v_cndmask_b32_e32 v5, v10, v13, vcc_lo
.LBB0_4:                                ;   in Loop: Header=BB0_2 Depth=1
	s_andn2_saveexec_b32 s0, s1
	s_cbranch_execz .LBB0_6
; %bb.5:                                ;   in Loop: Header=BB0_2 Depth=1
	v_cvt_f32_u32_e32 v4, s24
	s_sub_i32 s1, 0, s24
	v_rcp_iflag_f32_e32 v4, v4
	v_mul_f32_e32 v4, 0x4f7ffffe, v4
	v_cvt_u32_f32_e32 v4, v4
	v_mul_lo_u32 v5, s1, v4
	v_mul_hi_u32 v5, v4, v5
	v_add_nc_u32_e32 v4, v4, v5
	v_mul_hi_u32 v4, v11, v4
	v_mul_lo_u32 v5, v4, s24
	v_add_nc_u32_e32 v6, 1, v4
	v_sub_nc_u32_e32 v5, v11, v5
	v_subrev_nc_u32_e32 v10, s24, v5
	v_cmp_le_u32_e32 vcc_lo, s24, v5
	v_cndmask_b32_e32 v5, v5, v10, vcc_lo
	v_cndmask_b32_e32 v4, v4, v6, vcc_lo
	v_cmp_le_u32_e32 vcc_lo, s24, v5
	v_add_nc_u32_e32 v6, 1, v4
	v_cndmask_b32_e32 v5, v4, v6, vcc_lo
	v_mov_b32_e32 v6, v9
.LBB0_6:                                ;   in Loop: Header=BB0_2 Depth=1
	s_or_b32 exec_lo, exec_lo, s0
	v_mul_lo_u32 v4, v6, s24
	v_mul_lo_u32 v10, v5, s25
	s_load_dwordx2 s[0:1], s[6:7], 0x0
	v_mad_u64_u32 v[13:14], null, v5, s24, 0
	s_load_dwordx2 s[24:25], s[2:3], 0x0
	s_add_u32 s22, s22, 1
	s_addc_u32 s23, s23, 0
	s_add_u32 s2, s2, 8
	s_addc_u32 s3, s3, 0
	s_add_u32 s6, s6, 8
	v_add3_u32 v4, v14, v10, v4
	v_sub_co_u32 v10, vcc_lo, v11, v13
	s_addc_u32 s7, s7, 0
	s_add_u32 s20, s20, 8
	v_sub_co_ci_u32_e32 v4, vcc_lo, v12, v4, vcc_lo
	s_addc_u32 s21, s21, 0
	s_waitcnt lgkmcnt(0)
	v_mul_lo_u32 v11, s0, v4
	v_mul_lo_u32 v12, s1, v10
	v_mad_u64_u32 v[7:8], null, s0, v10, v[7:8]
	v_mul_lo_u32 v4, s24, v4
	v_mul_lo_u32 v13, s25, v10
	v_mad_u64_u32 v[1:2], null, s24, v10, v[1:2]
	v_cmp_ge_u64_e64 s0, s[22:23], s[14:15]
	v_add3_u32 v8, v12, v8, v11
	v_add3_u32 v2, v13, v2, v4
	s_and_b32 vcc_lo, exec_lo, s0
	s_cbranch_vccnz .LBB0_8
; %bb.7:                                ;   in Loop: Header=BB0_2 Depth=1
	v_mov_b32_e32 v12, v6
	v_mov_b32_e32 v11, v5
	s_branch .LBB0_2
.LBB0_8:
	s_load_dwordx2 s[0:1], s[4:5], 0x28
	v_mul_hi_u32 v4, 0xaaaaaaab, v3
	s_lshl_b64 s[4:5], s[14:15], 3
	s_add_u32 s2, s18, s4
	s_addc_u32 s3, s19, s5
	v_lshrrev_b32_e32 v4, 1, v4
	v_lshl_add_u32 v9, v4, 1, v4
	v_mul_hi_u32 v4, 0x3c3c3c4, v0
	v_sub_nc_u32_e32 v9, v3, v9
	s_waitcnt lgkmcnt(0)
	v_cmp_gt_u64_e32 vcc_lo, s[0:1], v[5:6]
	v_cmp_le_u64_e64 s0, s[0:1], v[5:6]
                                        ; implicit-def: $vgpr3
	s_and_saveexec_b32 s1, s0
	s_xor_b32 s0, exec_lo, s1
; %bb.9:
	v_mul_u32_u24_e32 v3, 0x44, v4
                                        ; implicit-def: $vgpr4
                                        ; implicit-def: $vgpr7_vgpr8
	v_sub_nc_u32_e32 v3, v0, v3
                                        ; implicit-def: $vgpr0
; %bb.10:
	s_or_saveexec_b32 s1, s0
	v_mul_u32_u24_e32 v9, 0x3b9, v9
	v_lshlrev_b32_e32 v30, 2, v9
	s_xor_b32 exec_lo, exec_lo, s1
	s_cbranch_execz .LBB0_12
; %bb.11:
	s_add_u32 s4, s16, s4
	s_addc_u32 s5, s17, s5
	v_lshlrev_b64 v[7:8], 2, v[7:8]
	s_load_dwordx2 s[4:5], s[4:5], 0x0
	s_waitcnt lgkmcnt(0)
	v_mul_lo_u32 v3, s5, v5
	v_mul_lo_u32 v11, s4, v6
	v_mad_u64_u32 v[9:10], null, s4, v5, 0
	v_add3_u32 v10, v10, v11, v3
	v_mul_u32_u24_e32 v3, 0x44, v4
	v_lshlrev_b64 v[9:10], 2, v[9:10]
	v_sub_nc_u32_e32 v3, v0, v3
	v_lshlrev_b32_e32 v11, 2, v3
	v_add_co_u32 v0, s0, s8, v9
	v_add_co_ci_u32_e64 v4, s0, s9, v10, s0
	v_add_co_u32 v0, s0, v0, v7
	v_add_co_ci_u32_e64 v4, s0, v4, v8, s0
	;; [unrolled: 2-line block ×4, first 2 shown]
	s_clause 0xd
	global_load_dword v0, v[7:8], off
	global_load_dword v4, v[7:8], off offset:272
	global_load_dword v12, v[7:8], off offset:544
	;; [unrolled: 1-line block ×13, first 2 shown]
	v_add3_u32 v10, 0, v30, v11
	v_add_nc_u32_e32 v11, 0x400, v10
	v_add_nc_u32_e32 v21, 0x800, v10
	;; [unrolled: 1-line block ×3, first 2 shown]
	s_waitcnt vmcnt(12)
	ds_write2_b32 v10, v0, v4 offset1:68
	s_waitcnt vmcnt(10)
	ds_write2_b32 v10, v12, v13 offset0:136 offset1:204
	s_waitcnt vmcnt(8)
	ds_write2_b32 v11, v14, v15 offset0:16 offset1:84
	;; [unrolled: 2-line block ×6, first 2 shown]
.LBB0_12:
	s_or_b32 exec_lo, exec_lo, s1
	v_lshlrev_b32_e32 v28, 2, v3
	s_waitcnt lgkmcnt(0)
	s_barrier
	buffer_gl0_inv
	v_mov_b32_e32 v38, 0xbbf7
	v_add_nc_u32_e32 v0, 0, v28
	v_mov_b32_e32 v39, 0xbbb2
	v_mov_b32_e32 v37, 0xb1e1
	;; [unrolled: 1-line block ×4, first 2 shown]
	v_add_nc_u32_e32 v29, v0, v30
	v_add_nc_u32_e32 v0, 0, v30
	v_mov_b32_e32 v81, 0x3964
	v_mov_b32_e32 v12, 0x35c8
	;; [unrolled: 1-line block ×3, first 2 shown]
	v_add_nc_u32_e32 v4, 0xc00, v29
	ds_read2_b32 v[21:22], v29 offset0:56 offset1:112
	v_add_nc_u32_e32 v31, 0xa00, v29
	v_add_nc_u32_e32 v27, v0, v28
	;; [unrolled: 1-line block ×3, first 2 shown]
	ds_read2_b32 v[9:10], v4 offset0:72 offset1:128
	ds_read2_b32 v[19:20], v29 offset0:168 offset1:224
	;; [unrolled: 1-line block ×3, first 2 shown]
	v_add_nc_u32_e32 v4, 0x800, v29
	v_add_nc_u32_e32 v7, 0x600, v29
	v_mov_b32_e32 v56, 0xb836
	ds_read2_b32 v[15:16], v4 offset0:104 offset1:160
	ds_read2_b32 v[17:18], v32 offset0:24 offset1:80
	ds_read_b32 v57, v27
	ds_read2_b32 v[23:24], v7 offset0:120 offset1:176
	ds_read2_b32 v[25:26], v32 offset0:136 offset1:192
	v_mov_b32_e32 v123, 0x3bf7
	v_mov_b32_e32 v112, 0x3a62
	;; [unrolled: 1-line block ×6, first 2 shown]
	s_mov_b32 s1, exec_lo
	s_waitcnt lgkmcnt(0)
	s_barrier
	buffer_gl0_inv
	v_pk_add_f16 v49, v21, v10 neg_lo:[0,1] neg_hi:[0,1]
	v_pk_add_f16 v52, v10, v21
	v_pk_add_f16 v47, v22, v9 neg_lo:[0,1] neg_hi:[0,1]
	v_pk_add_f16 v51, v9, v22
	v_pk_add_f16 v45, v19, v14 neg_lo:[0,1] neg_hi:[0,1]
	v_mul_f16_sdwa v74, v49, v38 dst_sel:DWORD dst_unused:UNUSED_PAD src0_sel:WORD_1 src1_sel:DWORD
	v_mul_f16_sdwa v89, v49, v39 dst_sel:DWORD dst_unused:UNUSED_PAD src0_sel:WORD_1 src1_sel:DWORD
	;; [unrolled: 1-line block ×4, first 2 shown]
	v_pk_add_f16 v48, v14, v19
	v_fmamk_f16 v7, v52, 0x2de8, v74
	v_fmamk_f16 v8, v52, 0xb461, v89
	v_pk_add_f16 v43, v20, v13 neg_lo:[0,1] neg_hi:[0,1]
	v_mul_f16_sdwa v71, v45, v98 dst_sel:DWORD dst_unused:UNUSED_PAD src0_sel:WORD_1 src1_sel:DWORD
	v_mul_f16_sdwa v84, v45, v81 dst_sel:DWORD dst_unused:UNUSED_PAD src0_sel:WORD_1 src1_sel:DWORD
	v_fmamk_f16 v33, v51, 0xbbdd, v72
	v_add_f16_e32 v7, v57, v7
	v_fmamk_f16 v34, v51, 0xbacd, v87
	v_add_f16_e32 v8, v57, v8
	v_pk_add_f16 v46, v13, v20
	v_pk_add_f16 v41, v17, v16 neg_lo:[0,1] neg_hi:[0,1]
	v_mul_f16_sdwa v69, v43, v12 dst_sel:DWORD dst_unused:UNUSED_PAD src0_sel:WORD_1 src1_sel:DWORD
	v_mul_f16_sdwa v82, v43, v58 dst_sel:DWORD dst_unused:UNUSED_PAD src0_sel:WORD_1 src1_sel:DWORD
	v_fmamk_f16 v35, v48, 0xb461, v71
	v_add_f16_e32 v7, v33, v7
	v_fmamk_f16 v33, v48, 0x39e9, v84
	v_add_f16_e32 v8, v34, v8
	v_pk_add_f16 v44, v16, v17
	;; [unrolled: 8-line block ×3, first 2 shown]
	v_mul_f16_sdwa v70, v40, v56 dst_sel:DWORD dst_unused:UNUSED_PAD src0_sel:WORD_1 src1_sel:DWORD
	v_fmamk_f16 v35, v44, 0x3722, v68
	v_add_f16_e32 v7, v36, v7
	v_mul_f16_sdwa v79, v40, v123 dst_sel:DWORD dst_unused:UNUSED_PAD src0_sel:WORD_1 src1_sel:DWORD
	v_fmamk_f16 v33, v44, 0xbbdd, v83
	v_add_f16_e32 v8, v34, v8
	v_pk_add_f16 v50, v25, v24 neg_lo:[0,1] neg_hi:[0,1]
	v_fmamk_f16 v36, v42, 0xbacd, v70
	v_add_f16_e32 v7, v35, v7
	v_pk_add_f16 v54, v24, v25
	v_add_f16_e32 v8, v33, v8
	v_fmamk_f16 v33, v42, 0x2de8, v79
	v_mul_f16_sdwa v75, v50, v112 dst_sel:DWORD dst_unused:UNUSED_PAD src0_sel:WORD_1 src1_sel:DWORD
	v_mul_f16_sdwa v90, v50, v60 dst_sel:DWORD dst_unused:UNUSED_PAD src0_sel:WORD_1 src1_sel:DWORD
	v_pk_add_f16 v53, v26, v23 neg_lo:[0,1] neg_hi:[0,1]
	v_add_f16_e32 v7, v36, v7
	v_add_f16_e32 v8, v33, v8
	v_fmamk_f16 v33, v54, 0xb8d2, v75
	v_fmamk_f16 v34, v54, 0x3b76, v90
	v_pk_add_f16 v55, v23, v26
	v_mul_f16_sdwa v76, v53, v81 dst_sel:DWORD dst_unused:UNUSED_PAD src0_sel:WORD_1 src1_sel:DWORD
	v_mul_f16_sdwa v77, v49, v67 dst_sel:DWORD dst_unused:UNUSED_PAD src0_sel:WORD_1 src1_sel:DWORD
	v_add_f16_e32 v7, v33, v7
	v_add_f16_e32 v33, v34, v8
	v_lshrrev_b32_e32 v62, 16, v52
	v_fmamk_f16 v8, v55, 0x39e9, v76
	v_mul_f16_e32 v92, 0xbb29, v49
	v_mul_f16_sdwa v78, v47, v38 dst_sel:DWORD dst_unused:UNUSED_PAD src0_sel:WORD_1 src1_sel:DWORD
	v_lshrrev_b32_e32 v64, 16, v51
	v_mul_f16_e32 v94, 0xba62, v47
	v_add_f16_e32 v8, v8, v7
	v_fmamk_f16 v7, v52, 0x39e9, v77
	v_fma_f16 v34, v62, 0x3722, -v92
	v_mul_f16_e32 v100, 0xbbf7, v49
	v_mul_f16_sdwa v86, v53, v61 dst_sel:DWORD dst_unused:UNUSED_PAD src0_sel:WORD_1 src1_sel:DWORD
	v_fmamk_f16 v35, v51, 0x2de8, v78
	v_add_f16_e32 v7, v57, v7
	v_add_f16_sdwa v34, v57, v34 dst_sel:DWORD dst_unused:UNUSED_PAD src0_sel:WORD_1 src1_sel:DWORD
	v_fma_f16 v36, v64, 0xb8d2, -v94
	v_fma_f16 v59, v62, 0x2de8, -v100
	v_mul_f16_e32 v128, 0xbbb2, v49
	v_mul_f16_e32 v104, 0xb1e1, v47
	v_fmamk_f16 v63, v55, 0xb8d2, v86
	v_add_f16_e32 v35, v35, v7
	v_add_f16_e32 v34, v36, v34
	v_add_f16_sdwa v36, v57, v59 dst_sel:DWORD dst_unused:UNUSED_PAD src0_sel:WORD_1 src1_sel:DWORD
	v_fma_f16 v7, v62, 0xb461, -v128
	v_mul_f16_e32 v129, 0x3836, v47
	v_lshrrev_b32_e32 v59, 16, v48
	v_mul_f16_e32 v96, 0x31e1, v45
	v_fma_f16 v65, v64, 0xbbdd, -v104
	v_mul_f16_e32 v111, 0x3bb2, v45
	v_mul_f16_sdwa v85, v45, v61 dst_sel:DWORD dst_unused:UNUSED_PAD src0_sel:WORD_1 src1_sel:DWORD
	v_add_f16_sdwa v66, v57, v7 dst_sel:DWORD dst_unused:UNUSED_PAD src0_sel:WORD_1 src1_sel:DWORD
	v_fma_f16 v73, v64, 0xbacd, -v129
	v_fma_f16 v88, v59, 0xbbdd, -v96
	v_add_f16_e32 v7, v63, v33
	v_add_f16_e32 v33, v65, v36
	v_mul_f16_e32 v131, 0x3964, v45
	v_lshrrev_b32_e32 v63, 16, v46
	v_fma_f16 v65, v59, 0xb461, -v111
	v_mul_f16_e32 v108, 0x35c8, v43
	v_fmamk_f16 v80, v48, 0xb8d2, v85
	v_add_f16_e32 v36, v73, v66
	v_add_f16_e32 v34, v88, v34
	v_mul_f16_sdwa v88, v43, v37 dst_sel:DWORD dst_unused:UNUSED_PAD src0_sel:WORD_1 src1_sel:DWORD
	v_fma_f16 v66, v59, 0x39e9, -v131
	v_add_f16_e32 v33, v65, v33
	v_fma_f16 v65, v63, 0x3b76, -v108
	v_mul_f16_e32 v132, 0xbb29, v43
	v_add_f16_e32 v35, v80, v35
	v_mul_f16_e32 v97, 0x3bb2, v43
	v_fmamk_f16 v73, v46, 0xbbdd, v88
	v_add_f16_e32 v36, v66, v36
	v_add_f16_e32 v33, v65, v33
	v_mul_f16_sdwa v91, v41, v11 dst_sel:DWORD dst_unused:UNUSED_PAD src0_sel:WORD_1 src1_sel:DWORD
	v_lshrrev_b32_e32 v65, 16, v44
	v_fma_f16 v11, v63, 0x3722, -v132
	v_mul_f16_e32 v101, 0xbb29, v41
	v_fma_f16 v80, v63, 0xb461, -v97
	v_add_f16_e32 v35, v73, v35
	v_mul_f16_e32 v133, 0xb1e1, v41
	v_fmamk_f16 v66, v44, 0xbacd, v91
	v_add_f16_e32 v11, v11, v36
	v_fma_f16 v36, v65, 0x3722, -v101
	v_mul_f16_sdwa v93, v40, v98 dst_sel:DWORD dst_unused:UNUSED_PAD src0_sel:WORD_1 src1_sel:DWORD
	v_add_f16_e32 v34, v80, v34
	v_mul_f16_e32 v99, 0x3964, v41
	v_fma_f16 v80, v65, 0xbbdd, -v133
	v_add_f16_e32 v35, v66, v35
	v_add_f16_e32 v33, v36, v33
	v_lshrrev_b32_e32 v66, 16, v42
	v_fmamk_f16 v36, v42, 0xb461, v93
	v_mul_f16_e32 v109, 0xb836, v40
	v_mul_f16_e32 v135, 0x3bf7, v40
	v_fma_f16 v73, v65, 0x39e9, -v99
	v_add_f16_e32 v11, v80, v11
	v_mul_f16_e32 v102, 0xb5c8, v40
	v_add_f16_e32 v35, v36, v35
	v_fma_f16 v36, v66, 0xbacd, -v109
	v_fma_f16 v80, v66, 0x2de8, -v135
	v_mul_f16_sdwa v95, v50, v138 dst_sel:DWORD dst_unused:UNUSED_PAD src0_sel:WORD_1 src1_sel:DWORD
	v_pk_mul_f16 v103, 0x39e93722, v52
	v_add_f16_e32 v34, v73, v34
	v_fma_f16 v73, v66, 0x3b76, -v102
	v_add_f16_e32 v33, v36, v33
	v_add_f16_e32 v11, v80, v11
	v_fmamk_f16 v36, v54, 0x3722, v95
	v_pk_mul_f16 v80, 0x2de8b8d2, v51
	v_pk_fma_f16 v105, 0xbb29b964, v49, v103 op_sel:[0,0,1] op_sel_hi:[1,1,0]
	v_pk_fma_f16 v121, 0xbb29b964, v49, v103 op_sel:[0,0,1] op_sel_hi:[1,1,0] neg_lo:[0,1,0] neg_hi:[0,1,0]
	v_add_f16_e32 v34, v73, v34
	v_lshrrev_b32_e32 v73, 16, v54
	v_mul_f16_e32 v113, 0xbbf7, v50
	v_add_f16_e32 v35, v36, v35
	v_pk_fma_f16 v107, 0xba62bbf7, v47, v80 op_sel:[0,0,1] op_sel_hi:[1,1,0]
	v_add_f16_sdwa v36, v57, v105 dst_sel:DWORD dst_unused:UNUSED_PAD src0_sel:DWORD src1_sel:WORD_1
	v_pk_mul_f16 v116, 0xb8d2bbdd, v48
	v_pk_fma_f16 v126, 0xba62bbf7, v47, v80 op_sel:[0,0,1] op_sel_hi:[1,1,0] neg_lo:[0,1,0] neg_hi:[0,1,0]
	v_add_f16_sdwa v80, v57, v121 dst_sel:DWORD dst_unused:UNUSED_PAD src0_sel:WORD_1 src1_sel:DWORD
	v_fma_f16 v106, v73, 0x2de8, -v113
	v_mul_f16_e32 v122, 0x3a62, v50
	v_mul_f16_e32 v136, 0xb5c8, v50
	v_add_f16_sdwa v36, v107, v36 dst_sel:DWORD dst_unused:UNUSED_PAD src0_sel:WORD_1 src1_sel:DWORD
	v_pk_fma_f16 v110, 0x31e1ba62, v45, v116 op_sel:[0,0,1] op_sel_hi:[1,1,0]
	v_pk_mul_f16 v117, 0xbbddb461, v46
	v_mul_f16_sdwa v103, v53, v12 dst_sel:DWORD dst_unused:UNUSED_PAD src0_sel:WORD_1 src1_sel:DWORD
	v_pk_fma_f16 v127, 0x31e1ba62, v45, v116 op_sel:[0,0,1] op_sel_hi:[1,1,0] neg_lo:[0,1,0] neg_hi:[0,1,0]
	v_add_f16_e32 v12, v126, v80
	v_add_f16_e32 v34, v106, v34
	v_fma_f16 v114, v73, 0xb8d2, -v122
	v_fma_f16 v115, v73, 0x3b76, -v136
	v_add_f16_sdwa v36, v110, v36 dst_sel:DWORD dst_unused:UNUSED_PAD src0_sel:WORD_1 src1_sel:DWORD
	v_pk_fma_f16 v106, 0x3bb2b1e1, v43, v117 op_sel:[0,0,1] op_sel_hi:[1,1,0]
	v_pk_mul_f16 v118, 0xbacd39e9, v44
	v_fmamk_f16 v80, v55, 0x3b76, v103
	v_pk_fma_f16 v119, 0x3bb2b1e1, v43, v117 op_sel:[0,0,1] op_sel_hi:[1,1,0] neg_lo:[0,1,0] neg_hi:[0,1,0]
	v_add_f16_e32 v116, v127, v12
	v_add_f16_e32 v33, v114, v33
	;; [unrolled: 1-line block ×3, first 2 shown]
	v_add_f16_sdwa v11, v106, v36 dst_sel:DWORD dst_unused:UNUSED_PAD src0_sel:WORD_1 src1_sel:DWORD
	v_pk_fma_f16 v114, 0x39643836, v41, v118 op_sel:[0,0,1] op_sel_hi:[1,1,0]
	v_pk_mul_f16 v36, 0xb4613b76, v42
	v_add_f16_e32 v12, v80, v35
	v_pk_fma_f16 v125, 0x39643836, v41, v118 op_sel:[0,0,1] op_sel_hi:[1,1,0] neg_lo:[0,1,0] neg_hi:[0,1,0]
	v_add_f16_e32 v35, v119, v116
	v_add_f16_sdwa v11, v114, v11 dst_sel:DWORD dst_unused:UNUSED_PAD src0_sel:WORD_1 src1_sel:DWORD
	v_pk_fma_f16 v115, 0xb5c83bb2, v40, v36 op_sel:[0,0,1] op_sel_hi:[1,1,0]
	v_pk_mul_f16 v120, 0x37222de8, v54
	v_pk_fma_f16 v124, 0xb5c83bb2, v40, v36 op_sel:[0,0,1] op_sel_hi:[1,1,0] neg_lo:[0,1,0] neg_hi:[0,1,0]
	v_add_f16_e32 v35, v125, v35
	v_pk_mul_f16 v140, 0x3b76bacd, v55
	v_add_f16_sdwa v11, v115, v11 dst_sel:DWORD dst_unused:UNUSED_PAD src0_sel:WORD_1 src1_sel:DWORD
	v_pk_fma_f16 v117, 0xbbf73b29, v50, v120 op_sel:[0,0,1] op_sel_hi:[1,1,0]
	v_lshrrev_b32_e32 v80, 16, v55
	v_mul_f16_e32 v130, 0xb836, v53
	v_mul_f16_e32 v134, 0x3964, v53
	;; [unrolled: 1-line block ×3, first 2 shown]
	v_pk_fma_f16 v120, 0xbbf73b29, v50, v120 op_sel:[0,0,1] op_sel_hi:[1,1,0] neg_lo:[0,1,0] neg_hi:[0,1,0]
	v_add_f16_e32 v35, v124, v35
	v_add_f16_sdwa v11, v117, v11 dst_sel:DWORD dst_unused:UNUSED_PAD src0_sel:WORD_1 src1_sel:DWORD
	v_pk_fma_f16 v116, 0xb83635c8, v53, v140 op_sel:[0,0,1] op_sel_hi:[1,1,0]
	v_fma_f16 v36, v80, 0xbacd, -v130
	v_fma_f16 v141, v80, 0x39e9, -v134
	;; [unrolled: 1-line block ×3, first 2 shown]
	v_pk_fma_f16 v118, 0xb83635c8, v53, v140 op_sel:[0,0,1] op_sel_hi:[1,1,0] neg_lo:[0,1,0] neg_hi:[0,1,0]
	v_add_f16_e32 v140, v120, v35
	v_add_f16_sdwa v11, v116, v11 dst_sel:DWORD dst_unused:UNUSED_PAD src0_sel:WORD_1 src1_sel:DWORD
	v_add_f16_e32 v34, v36, v34
	v_add_f16_e32 v35, v141, v33
	;; [unrolled: 1-line block ×4, first 2 shown]
	v_cmpx_gt_u32_e32 56, v3
	s_cbranch_execz .LBB0_14
; %bb.13:
	v_mul_f16_e32 v139, 0xb8d2, v62
	v_mul_f16_sdwa v140, v49, v61 dst_sel:DWORD dst_unused:UNUSED_PAD src0_sel:WORD_1 src1_sel:DWORD
	v_mul_f16_e32 v141, 0xb461, v64
	v_mul_f16_sdwa v143, v47, v98 dst_sel:DWORD dst_unused:UNUSED_PAD src0_sel:WORD_1 src1_sel:DWORD
	v_mul_f16_e32 v142, 0x3b76, v59
	v_fmamk_f16 v98, v49, 0x3a62, v139
	v_fmamk_f16 v146, v52, 0xb8d2, v140
	;; [unrolled: 1-line block ×3, first 2 shown]
	v_mul_f16_sdwa v144, v45, v60 dst_sel:DWORD dst_unused:UNUSED_PAD src0_sel:WORD_1 src1_sel:DWORD
	v_mul_f16_e32 v145, 0xbacd, v63
	v_add_f16_sdwa v98, v57, v98 dst_sel:DWORD dst_unused:UNUSED_PAD src0_sel:WORD_1 src1_sel:DWORD
	v_fmamk_f16 v149, v51, 0xb461, v143
	v_fmamk_f16 v150, v45, 0x35c8, v142
	v_add_f16_e32 v146, v57, v146
	v_mul_f16_sdwa v148, v43, v56 dst_sel:DWORD dst_unused:UNUSED_PAD src0_sel:WORD_1 src1_sel:DWORD
	v_add_f16_e32 v98, v147, v98
	v_mul_f16_e32 v147, 0x2de8, v65
	v_fmamk_f16 v151, v48, 0x3b76, v144
	v_fmamk_f16 v152, v43, 0x3836, v145
	v_add_f16_e32 v146, v149, v146
	v_add_f16_e32 v98, v150, v98
	v_mul_f16_sdwa v149, v41, v123 dst_sel:DWORD dst_unused:UNUSED_PAD src0_sel:WORD_1 src1_sel:DWORD
	v_fmamk_f16 v123, v46, 0xbacd, v148
	v_fmamk_f16 v150, v41, 0xbbf7, v147
	v_add_f16_e32 v146, v151, v146
	v_add_f16_e32 v98, v152, v98
	v_mul_f16_e32 v151, 0x39e9, v66
	v_mul_f16_sdwa v152, v40, v67 dst_sel:DWORD dst_unused:UNUSED_PAD src0_sel:WORD_1 src1_sel:DWORD
	v_fmamk_f16 v153, v44, 0x2de8, v149
	v_add_f16_e32 v123, v123, v146
	v_add_f16_e32 v98, v150, v98
	v_fmamk_f16 v146, v40, 0x3964, v151
	v_mul_f16_e32 v150, 0xbbdd, v73
	v_mul_f16_e32 v155, 0xbacd, v62
	v_fmamk_f16 v154, v42, 0x39e9, v152
	v_add_f16_e32 v123, v153, v123
	v_add_f16_e32 v98, v146, v98
	v_fmamk_f16 v146, v50, 0x31e1, v150
	v_fmamk_f16 v156, v49, 0x3836, v155
	v_mul_f16_e32 v157, 0x3722, v64
	v_mul_f16_sdwa v153, v50, v37 dst_sel:DWORD dst_unused:UNUSED_PAD src0_sel:WORD_1 src1_sel:DWORD
	v_mul_f16_e32 v158, 0x3722, v80
	v_add_f16_e32 v123, v154, v123
	v_add_f16_e32 v98, v146, v98
	v_add_f16_sdwa v146, v57, v156 dst_sel:DWORD dst_unused:UNUSED_PAD src0_sel:WORD_1 src1_sel:DWORD
	v_fmamk_f16 v154, v47, 0xbb29, v157
	v_mul_f16_e32 v156, 0x2de8, v59
	v_fmamk_f16 v159, v54, 0xbbdd, v153
	v_fmamk_f16 v160, v53, 0xbb29, v158
	v_mul_f16_e32 v162, 0xb8d2, v63
	v_add_f16_e32 v146, v154, v146
	v_fmamk_f16 v154, v45, 0x3bf7, v156
	v_add_f16_e32 v123, v159, v123
	v_add_f16_e32 v98, v160, v98
	v_mul_f16_sdwa v159, v49, v56 dst_sel:DWORD dst_unused:UNUSED_PAD src0_sel:WORD_1 src1_sel:DWORD
	v_mul_f16_e32 v160, 0x3b76, v65
	v_add_f16_e32 v146, v154, v146
	v_fmamk_f16 v154, v43, 0xba62, v162
	v_fmac_f16_e32 v139, 0xba62, v49
	v_mul_f16_sdwa v161, v53, v138 dst_sel:DWORD dst_unused:UNUSED_PAD src0_sel:WORD_1 src1_sel:DWORD
	v_fmamk_f16 v164, v52, 0xbacd, v159
	v_mul_f16_sdwa v138, v47, v138 dst_sel:DWORD dst_unused:UNUSED_PAD src0_sel:WORD_1 src1_sel:DWORD
	v_add_f16_e32 v146, v154, v146
	v_fmamk_f16 v154, v41, 0x35c8, v160
	v_mul_f16_e32 v165, 0xbbdd, v66
	v_add_f16_sdwa v139, v57, v139 dst_sel:DWORD dst_unused:UNUSED_PAD src0_sel:WORD_1 src1_sel:DWORD
	v_fmac_f16_e32 v141, 0x3bb2, v47
	v_fma_f16 v140, v52, 0xb8d2, -v140
	v_add_f16_e32 v164, v57, v164
	v_fmamk_f16 v166, v51, 0x3722, v138
	v_mul_f16_sdwa v167, v45, v38 dst_sel:DWORD dst_unused:UNUSED_PAD src0_sel:WORD_1 src1_sel:DWORD
	v_add_f16_e32 v146, v154, v146
	v_fmamk_f16 v154, v40, 0x31e1, v165
	v_mul_f16_e32 v168, 0x39e9, v73
	v_add_f16_e32 v139, v141, v139
	v_add_f16_e32 v140, v57, v140
	v_fma_f16 v141, v51, 0xb461, -v143
	v_fmamk_f16 v163, v55, 0x3722, v161
	v_add_f16_e32 v164, v166, v164
	v_fmamk_f16 v166, v48, 0x2de8, v167
	v_mul_f16_sdwa v169, v43, v112 dst_sel:DWORD dst_unused:UNUSED_PAD src0_sel:WORD_1 src1_sel:DWORD
	v_add_f16_e32 v146, v154, v146
	v_fmamk_f16 v154, v50, 0xb964, v168
	v_add_f16_e32 v140, v141, v140
	v_fma_f16 v141, v48, 0x3b76, -v144
	v_add_f16_e32 v112, v163, v123
	v_add_f16_e32 v123, v166, v164
	v_fmamk_f16 v163, v46, 0xb8d2, v169
	v_mul_f16_sdwa v164, v41, v60 dst_sel:DWORD dst_unused:UNUSED_PAD src0_sel:WORD_1 src1_sel:DWORD
	v_add_f16_e32 v146, v154, v146
	v_mul_f16_e32 v154, 0xb461, v80
	v_fmac_f16_e32 v142, 0xb5c8, v45
	v_add_f16_e32 v140, v141, v140
	v_fma_f16 v141, v46, 0xbacd, -v148
	v_fmac_f16_e32 v155, 0xb836, v49
	v_add_f16_e32 v123, v163, v123
	v_fmamk_f16 v163, v44, 0x3b76, v164
	v_fmamk_f16 v170, v53, 0x3bb2, v154
	v_add_f16_e32 v139, v142, v139
	v_fmac_f16_e32 v145, 0xb836, v43
	v_add_f16_e32 v140, v141, v140
	v_fma_f16 v141, v44, 0x2de8, -v149
	v_mul_f16_sdwa v166, v40, v37 dst_sel:DWORD dst_unused:UNUSED_PAD src0_sel:WORD_1 src1_sel:DWORD
	v_add_f16_sdwa v155, v57, v155 dst_sel:DWORD dst_unused:UNUSED_PAD src0_sel:WORD_1 src1_sel:DWORD
	v_fmac_f16_e32 v157, 0x3b29, v47
	v_add_f16_e32 v163, v163, v123
	v_add_f16_e32 v123, v170, v146
	v_fma_f16 v146, v52, 0xbacd, -v159
	v_add_f16_e32 v139, v145, v139
	v_mul_f16_e32 v144, 0xb461, v62
	v_add_f16_e32 v140, v141, v140
	v_fma_f16 v145, v42, 0x39e9, -v152
	v_fmamk_f16 v171, v42, 0xbbdd, v166
	v_add_f16_e32 v155, v157, v155
	v_fmac_f16_e32 v156, 0xbbf7, v45
	v_mul_f16_sdwa v159, v50, v81 dst_sel:DWORD dst_unused:UNUSED_PAD src0_sel:WORD_1 src1_sel:DWORD
	v_add_f16_e32 v81, v57, v146
	v_fma_f16 v138, v51, 0x3722, -v138
	v_add_f16_e32 v128, v128, v144
	v_mul_f16_e32 v144, 0xbacd, v64
	v_add_f16_e32 v140, v145, v140
	v_fma_f16 v145, v54, 0xbbdd, -v153
	v_add_f16_e32 v157, v171, v163
	v_add_f16_e32 v146, v156, v155
	v_fmac_f16_e32 v162, 0x3a62, v43
	v_fmamk_f16 v155, v54, 0x39e9, v159
	v_mul_f16_sdwa v156, v53, v39 dst_sel:DWORD dst_unused:UNUSED_PAD src0_sel:WORD_1 src1_sel:DWORD
	v_add_f16_e32 v81, v138, v81
	v_fma_f16 v138, v48, 0x2de8, -v167
	v_add_f16_sdwa v128, v57, v128 dst_sel:DWORD dst_unused:UNUSED_PAD src0_sel:WORD_1 src1_sel:DWORD
	v_add_f16_e32 v129, v129, v144
	v_add_f16_e32 v140, v145, v140
	v_mul_f16_e32 v145, 0x39e9, v59
	v_fma_f16 v148, v55, 0x3722, -v161
	v_add_f16_e32 v146, v162, v146
	v_fmac_f16_e32 v160, 0xb5c8, v41
	v_add_f16_e32 v155, v155, v157
	v_fmamk_f16 v157, v55, 0xb461, v156
	v_add_f16_e32 v138, v138, v81
	v_fma_f16 v162, v46, 0xb8d2, -v169
	v_add_f16_e32 v128, v129, v128
	v_mul_f16_e32 v129, 0xb461, v52
	v_add_f16_e32 v131, v131, v145
	v_add_f16_e32 v140, v148, v140
	v_mul_f16_e32 v148, 0x3722, v63
	v_add_f16_e32 v146, v160, v146
	v_fmac_f16_e32 v165, 0xb1e1, v40
	v_add_f16_e32 v81, v157, v155
	v_add_f16_e32 v138, v162, v138
	v_fma_f16 v155, v44, 0x3b76, -v164
	v_add_f16_e32 v128, v131, v128
	v_mul_f16_e32 v131, 0xbacd, v51
	v_sub_f16_e32 v89, v129, v89
	v_add_f16_e32 v132, v132, v148
	v_mul_f16_e32 v148, 0xbbdd, v65
	v_add_f16_e32 v146, v165, v146
	v_fmac_f16_e32 v168, 0x3964, v50
	v_add_f16_e32 v138, v155, v138
	v_fma_f16 v155, v42, 0xbbdd, -v166
	v_sub_f16_e32 v87, v131, v87
	v_add_f16_e32 v89, v57, v89
	v_add_f16_e32 v128, v132, v128
	v_mul_f16_e32 v132, 0x39e9, v48
	v_add_f16_e32 v133, v133, v148
	v_add_f16_e32 v146, v168, v146
	;; [unrolled: 1-line block ×3, first 2 shown]
	v_fma_f16 v143, v54, 0x39e9, -v159
	v_fmac_f16_e32 v154, 0xbbb2, v53
	v_fmac_f16_e32 v147, 0x3bf7, v41
	v_add_f16_e32 v87, v87, v89
	v_mul_f16_e32 v89, 0x2de8, v66
	v_sub_f16_e32 v84, v132, v84
	v_add_f16_e32 v128, v133, v128
	v_mul_f16_e32 v133, 0x3722, v46
	v_add_f16_e32 v138, v143, v138
	v_add_f16_e32 v143, v154, v146
	;; [unrolled: 1-line block ×3, first 2 shown]
	v_mul_f16_e32 v146, 0x3722, v62
	v_mul_f16_e32 v147, 0x2de8, v52
	v_add_f16_e32 v89, v135, v89
	v_add_f16_e32 v84, v84, v87
	v_sub_f16_e32 v82, v133, v82
	v_mul_f16_e32 v144, 0x2de8, v62
	v_mul_f16_e32 v149, 0xb8d2, v64
	;; [unrolled: 1-line block ×4, first 2 shown]
	v_add_f16_e32 v89, v89, v128
	v_mul_f16_e32 v128, 0xbbdd, v44
	v_add_f16_e32 v82, v82, v84
	v_mul_f16_e32 v84, 0xb8d2, v80
	v_sub_f16_e32 v74, v147, v74
	v_add_f16_e32 v92, v92, v146
	v_mul_f16_e32 v131, 0xbbdd, v64
	v_mul_f16_e32 v132, 0xbbdd, v59
	;; [unrolled: 1-line block ×3, first 2 shown]
	v_add_f16_e32 v87, v136, v87
	v_sub_f16_e32 v83, v128, v83
	v_add_f16_e32 v84, v137, v84
	v_mul_f16_e32 v137, 0x2de8, v42
	v_add_f16_e32 v100, v100, v144
	v_add_f16_e32 v74, v57, v74
	v_sub_f16_e32 v72, v129, v72
	v_add_f16_e32 v94, v94, v149
	v_add_f16_sdwa v92, v57, v92 dst_sel:DWORD dst_unused:UNUSED_PAD src0_sel:WORD_1 src1_sel:DWORD
	v_mul_f16_e32 v133, 0xb461, v59
	v_mul_f16_e32 v128, 0xb461, v63
	v_add_f16_e32 v87, v87, v89
	v_mul_f16_e32 v89, 0x3b76, v46
	v_add_f16_e32 v82, v83, v82
	v_sub_f16_e32 v79, v137, v79
	v_add_f16_e32 v104, v104, v131
	v_add_f16_sdwa v100, v57, v100 dst_sel:DWORD dst_unused:UNUSED_PAD src0_sel:WORD_1 src1_sel:DWORD
	v_add_f16_e32 v72, v72, v74
	v_sub_f16_e32 v71, v135, v71
	v_add_f16_e32 v92, v94, v92
	v_add_f16_e32 v96, v96, v132
	v_mul_f16_e32 v83, 0x3b76, v63
	v_mul_f16_e32 v137, 0x3b76, v54
	;; [unrolled: 1-line block ×3, first 2 shown]
	v_add_f16_e32 v79, v79, v82
	v_mul_f16_e32 v82, 0x3722, v44
	v_add_f16_e32 v100, v104, v100
	v_add_f16_e32 v111, v111, v133
	;; [unrolled: 1-line block ×3, first 2 shown]
	v_sub_f16_e32 v69, v89, v69
	v_add_f16_e32 v72, v96, v92
	v_add_f16_e32 v89, v97, v128
	v_sub_f16_e32 v90, v137, v90
	v_mul_f16_e32 v137, 0x3722, v65
	v_mul_f16_e32 v133, 0x3b76, v66
	v_add_f16_e32 v84, v84, v87
	v_mul_f16_e32 v87, 0xbacd, v42
	v_add_f16_e32 v100, v111, v100
	v_add_f16_e32 v83, v108, v83
	;; [unrolled: 1-line block ×3, first 2 shown]
	v_sub_f16_e32 v68, v82, v68
	v_add_f16_e32 v71, v89, v72
	v_add_f16_e32 v72, v99, v131
	v_mul_f16_e32 v141, 0x39e9, v52
	v_add_f16_e32 v79, v90, v79
	v_mul_f16_e32 v90, 0xbacd, v66
	v_mul_f16_e32 v147, 0x2de8, v73
	;; [unrolled: 1-line block ×3, first 2 shown]
	v_add_f16_e32 v83, v83, v100
	v_add_f16_e32 v100, v101, v137
	;; [unrolled: 1-line block ×3, first 2 shown]
	v_sub_f16_e32 v69, v87, v70
	v_add_f16_e32 v70, v72, v71
	v_add_f16_e32 v71, v102, v133
	v_mul_f16_e32 v145, 0x2de8, v51
	v_mul_f16_e32 v146, 0xb8d2, v73
	v_mul_f16_e32 v149, 0xbacd, v80
	v_mul_f16_e32 v74, 0x39e9, v55
	v_add_f16_e32 v83, v100, v83
	v_add_f16_e32 v90, v109, v90
	;; [unrolled: 1-line block ×3, first 2 shown]
	v_sub_f16_e32 v69, v108, v75
	v_add_f16_e32 v70, v71, v70
	v_add_f16_e32 v71, v113, v147
	v_sub_f16_e32 v77, v141, v77
	v_mul_f16_e32 v148, 0xb8d2, v48
	v_add_f16_e32 v82, v90, v83
	v_add_f16_e32 v83, v122, v146
	;; [unrolled: 1-line block ×3, first 2 shown]
	v_sub_f16_e32 v69, v74, v76
	v_add_f16_e32 v70, v71, v70
	v_add_f16_e32 v71, v130, v149
	;; [unrolled: 1-line block ×3, first 2 shown]
	v_sub_f16_e32 v76, v145, v78
	v_mul_f16_e32 v78, 0xb5c8, v49
	v_mul_f16_e32 v136, 0xbbdd, v46
	v_add_f16_e32 v82, v83, v82
	v_add_f16_e32 v68, v69, v68
	;; [unrolled: 1-line block ×4, first 2 shown]
	v_sub_f16_e32 v71, v148, v85
	v_fmamk_f16 v83, v62, 0x3b76, v78
	v_mul_f16_e32 v85, 0xb964, v47
	v_mul_f16_e32 v90, 0xbbf7, v43
	v_pk_add_f16 v21, v57, v21
	v_add_f16_e32 v70, v71, v70
	v_sub_f16_e32 v71, v136, v88
	v_add_f16_sdwa v83, v57, v83 dst_sel:DWORD dst_unused:UNUSED_PAD src0_sel:WORD_1 src1_sel:DWORD
	v_fmamk_f16 v87, v64, 0x39e9, v85
	v_mul_f16_e32 v88, 0xbb29, v45
	v_mul_f16_sdwa v60, v49, v60 dst_sel:DWORD dst_unused:UNUSED_PAD src0_sel:WORD_1 src1_sel:DWORD
	v_pk_add_f16 v21, v21, v22
	v_mul_f16_e32 v94, 0xb8d2, v55
	v_add_f16_e32 v83, v87, v83
	v_fmamk_f16 v87, v59, 0x3722, v88
	v_mul_f16_sdwa v67, v47, v67 dst_sel:DWORD dst_unused:UNUSED_PAD src0_sel:WORD_1 src1_sel:DWORD
	v_pk_add_f16 v19, v21, v19
	v_sub_f16_e32 v72, v94, v86
	v_mul_f16_sdwa v58, v45, v58 dst_sel:DWORD dst_unused:UNUSED_PAD src0_sel:WORD_1 src1_sel:DWORD
	v_add_f16_e32 v83, v87, v83
	v_fmamk_f16 v87, v63, 0x2de8, v90
	v_fma_f16 v94, v51, 0x39e9, -v67
	v_pk_add_f16 v19, v19, v20
	v_mul_f16_sdwa v38, v43, v38 dst_sel:DWORD dst_unused:UNUSED_PAD src0_sel:WORD_1 src1_sel:DWORD
	v_mul_f16_e32 v144, 0xbacd, v44
	v_add_f16_e32 v83, v87, v83
	v_fma_f16 v87, v52, 0x3b76, -v60
	v_pk_add_f16 v17, v19, v17
	v_mul_f16_sdwa v39, v41, v39 dst_sel:DWORD dst_unused:UNUSED_PAD src0_sel:WORD_1 src1_sel:DWORD
	v_mul_f16_e32 v104, 0xb461, v42
	v_add_f16_e32 v70, v71, v70
	v_add_f16_e32 v87, v57, v87
	v_pk_add_f16 v17, v17, v18
	v_sub_f16_e32 v71, v144, v91
	v_mul_f16_sdwa v61, v40, v61 dst_sel:DWORD dst_unused:UNUSED_PAD src0_sel:WORD_1 src1_sel:DWORD
	v_fma_f16 v20, v62, 0x3b76, -v78
	v_add_f16_e32 v87, v94, v87
	v_fma_f16 v94, v48, 0x3722, -v58
	v_pk_add_f16 v17, v17, v25
	v_mul_f16_e32 v111, 0x3722, v54
	v_add_f16_e32 v70, v71, v70
	v_sub_f16_e32 v71, v104, v93
	v_add_f16_e32 v22, v94, v87
	v_fma_f16 v87, v46, 0x2de8, -v38
	v_fma_f16 v78, v42, 0xb8d2, -v61
	v_add_f16_sdwa v19, v57, v20 dst_sel:DWORD dst_unused:UNUSED_PAD src0_sel:WORD_1 src1_sel:DWORD
	v_fma_f16 v20, v64, 0x39e9, -v85
	v_fmac_f16_e32 v60, 0x3b76, v52
	v_add_f16_e32 v22, v87, v22
	v_fma_f16 v87, v44, 0xb461, -v39
	v_pk_add_f16 v17, v17, v26
	v_mul_f16_e32 v129, 0x3b76, v55
	v_add_f16_e32 v70, v71, v70
	v_sub_f16_e32 v71, v111, v95
	v_add_f16_e32 v22, v87, v22
	v_add_f16_e32 v19, v20, v19
	v_fma_f16 v20, v59, 0x3722, -v88
	v_fmac_f16_e32 v67, 0x39e9, v51
	v_pk_add_f16 v17, v17, v23
	v_add_f16_e32 v18, v78, v22
	v_add_f16_e32 v22, v57, v60
	;; [unrolled: 1-line block ×3, first 2 shown]
	v_mul_f16_e32 v71, 0xbbb2, v41
	v_sub_f16_e32 v92, v129, v103
	v_add_f16_e32 v19, v20, v19
	v_fma_f16 v20, v63, 0x2de8, -v90
	v_add_f16_e32 v22, v67, v22
	v_fmac_f16_e32 v58, 0x3722, v48
	v_pk_add_f16 v17, v17, v24
	v_add_f16_e32 v70, v92, v70
	v_mul_f16_e32 v92, 0xba62, v40
	v_add_f16_e32 v19, v20, v19
	v_fma_f16 v20, v65, 0xb461, -v71
	v_add_f16_e32 v22, v58, v22
	v_fmac_f16_e32 v38, 0x2de8, v46
	v_pk_add_f16 v15, v17, v15
	v_fma_f16 v142, v55, 0xb461, -v156
	v_mul_f16_e32 v95, 0xb836, v50
	v_mul_f16_sdwa v25, v50, v56 dst_sel:DWORD dst_unused:UNUSED_PAD src0_sel:WORD_1 src1_sel:DWORD
	v_add_f16_e32 v19, v20, v19
	v_fma_f16 v20, v66, 0xb8d2, -v92
	v_add_f16_e32 v22, v38, v22
	v_fmac_f16_e32 v39, 0xb461, v44
	v_pk_add_f16 v15, v15, v16
	v_add_f16_e32 v138, v142, v138
	v_alignbit_b32 v142, v57, v57, 16
	v_bfi_b32 v74, 0xffff, v105, v121
	v_mul_f16_e32 v21, 0xb1e1, v53
	v_fma_f16 v26, v54, 0xbacd, -v25
	v_mul_f16_sdwa v17, v53, v37 dst_sel:DWORD dst_unused:UNUSED_PAD src0_sel:WORD_1 src1_sel:DWORD
	v_add_f16_e32 v19, v20, v19
	v_fma_f16 v20, v73, 0xbacd, -v95
	v_add_f16_e32 v22, v39, v22
	v_fmac_f16_e32 v61, 0xb8d2, v42
	v_pk_add_f16 v13, v15, v13
	v_bfi_b32 v76, 0xffff, v107, v126
	v_add_f16_e32 v18, v26, v18
	v_fma_f16 v16, v55, 0xbbdd, -v17
	v_add_f16_e32 v19, v20, v19
	v_fma_f16 v20, v80, 0xbbdd, -v21
	v_add_f16_e32 v15, v61, v22
	v_fmac_f16_e32 v25, 0xbacd, v54
	v_pk_add_f16 v13, v13, v14
	v_pk_add_f16 v14, v142, v74
	v_bfi_b32 v77, 0xffff, v110, v127
	v_add_f16_e32 v16, v16, v18
	v_add_f16_e32 v18, v20, v19
	;; [unrolled: 1-line block ×3, first 2 shown]
	v_fmac_f16_e32 v17, 0xbbdd, v55
	v_mul_u32_u24_e32 v19, 0x44, v3
	v_pk_add_f16 v9, v13, v9
	v_pk_add_f16 v13, v76, v14
	v_pk_mul_f16 v14, 0xbbdd, v52 op_sel_hi:[0,1]
	v_add_f16_e32 v15, v17, v15
	v_add3_u32 v17, 0, v19, v30
	v_pk_add_f16 v9, v9, v10
	v_pk_add_f16 v10, v77, v13
	v_pk_fma_f16 v13, 0xb1e1, v49, v14 op_sel:[0,0,1] op_sel_hi:[0,1,0] neg_lo:[0,1,0] neg_hi:[0,1,0]
	v_pk_mul_f16 v19, 0x3b76, v51 op_sel_hi:[0,1]
	v_pk_fma_f16 v14, 0xb1e1, v49, v14 op_sel:[0,0,1] op_sel_hi:[0,1,0]
	v_fmamk_f16 v62, v80, 0xbbdd, v21
	v_pk_mul_f16 v21, 0xbacd, v48 op_sel_hi:[0,1]
	v_pk_add_f16 v13, v142, v13
	v_pk_fma_f16 v20, 0x35c8, v47, v19 op_sel:[0,0,1] op_sel_hi:[0,1,0] neg_lo:[0,1,0] neg_hi:[0,1,0]
	v_pk_add_f16 v14, v142, v14
	v_pk_fma_f16 v19, 0x35c8, v47, v19 op_sel:[0,0,1] op_sel_hi:[0,1,0]
	v_mul_f16_e32 v135, 0x39e9, v80
	v_pk_mul_f16 v22, 0x39e9, v46 op_sel_hi:[0,1]
	v_pk_add_f16 v13, v20, v13
	v_pk_fma_f16 v20, 0xb836, v45, v21 op_sel:[0,0,1] op_sel_hi:[0,1,0] neg_lo:[0,1,0] neg_hi:[0,1,0]
	v_pk_add_f16 v14, v19, v14
	v_pk_fma_f16 v19, 0xb836, v45, v21 op_sel:[0,0,1] op_sel_hi:[0,1,0]
	v_add_f16_e32 v75, v134, v135
	v_add_f16_e32 v72, v72, v79
	v_bfi_b32 v79, 0xffff, v106, v119
	v_fmamk_f16 v93, v65, 0xb461, v71
	v_pk_add_f16 v13, v20, v13
	v_pk_fma_f16 v20, 0x3964, v43, v22 op_sel:[0,0,1] op_sel_hi:[0,1,0] neg_lo:[0,1,0] neg_hi:[0,1,0]
	v_pk_mul_f16 v21, 0xb8d2, v44 op_sel_hi:[0,1]
	v_pk_add_f16 v14, v19, v14
	v_pk_fma_f16 v19, 0x3964, v43, v22 op_sel:[0,0,1] op_sel_hi:[0,1,0]
	v_add_f16_e32 v75, v75, v82
	v_bfi_b32 v82, 0xffff, v114, v125
	v_pk_add_f16 v10, v79, v10
	v_add_f16_e32 v83, v93, v83
	v_fmamk_f16 v93, v66, 0xb8d2, v92
	v_pk_add_f16 v13, v20, v13
	v_pk_fma_f16 v20, 0xba62, v41, v21 op_sel:[0,0,1] op_sel_hi:[0,1,0] neg_lo:[0,1,0] neg_hi:[0,1,0]
	v_pk_mul_f16 v22, 0x3722, v42 op_sel_hi:[0,1]
	v_pk_add_f16 v14, v19, v14
	v_pk_fma_f16 v19, 0xba62, v41, v21 op_sel:[0,0,1] op_sel_hi:[0,1,0]
	v_bfi_b32 v86, 0xffff, v115, v124
	v_pk_add_f16 v10, v82, v10
	v_fmac_f16_e32 v151, 0xb964, v40
	v_add_f16_e32 v83, v93, v83
	v_fmamk_f16 v93, v73, 0xbacd, v95
	v_pk_add_f16 v13, v20, v13
	v_pk_fma_f16 v20, 0x3b29, v40, v22 op_sel:[0,0,1] op_sel_hi:[0,1,0] neg_lo:[0,1,0] neg_hi:[0,1,0]
	v_pk_mul_f16 v21, 0xb461, v54 op_sel_hi:[0,1]
	v_pk_add_f16 v14, v19, v14
	v_pk_fma_f16 v19, 0x3b29, v40, v22 op_sel:[0,0,1] op_sel_hi:[0,1,0]
	v_bfi_b32 v89, 0xffff, v117, v120
	v_pk_add_f16 v10, v86, v10
	v_add_f16_e32 v139, v151, v139
	v_fmac_f16_e32 v150, 0xb1e1, v50
	v_add_f16_e32 v83, v93, v83
	v_pk_add_f16 v13, v20, v13
	v_pk_fma_f16 v20, 0xbbb2, v50, v21 op_sel:[0,0,1] op_sel_hi:[0,1,0] neg_lo:[0,1,0] neg_hi:[0,1,0]
	v_pk_mul_f16 v23, 0x2de8, v55 op_sel_hi:[0,1]
	v_pk_add_f16 v14, v19, v14
	v_pk_fma_f16 v19, 0xbbb2, v50, v21 op_sel:[0,0,1] op_sel_hi:[0,1,0]
	v_bfi_b32 v91, 0xffff, v116, v118
	v_pk_add_f16 v10, v89, v10
	v_add_f16_e32 v139, v150, v139
	v_fmac_f16_e32 v158, 0x3b29, v53
	v_add_f16_e32 v62, v62, v83
	v_pk_add_f16 v13, v20, v13
	v_pk_fma_f16 v20, 0x3bf7, v53, v23 op_sel:[0,0,1] op_sel_hi:[0,1,0] neg_lo:[0,1,0] neg_hi:[0,1,0]
	v_pk_add_f16 v14, v19, v14
	v_pk_fma_f16 v19, 0x3bf7, v53, v23 op_sel:[0,0,1] op_sel_hi:[0,1,0]
	v_pk_add_f16 v10, v91, v10
	v_add_f16_e32 v139, v158, v139
	v_pack_b32_f16 v16, v16, v62
	v_pk_add_f16 v13, v20, v13
	v_pk_add_f16 v14, v19, v14
	v_alignbit_b32 v22, v69, v10, 16
	v_pack_b32_f16 v10, v70, v10
	v_pack_b32_f16 v21, v72, v84
	;; [unrolled: 1-line block ×5, first 2 shown]
	ds_write2_b32 v17, v9, v16 offset1:1
	ds_write2_b32 v17, v10, v22 offset0:2 offset1:3
	ds_write2_b32 v17, v23, v21 offset0:4 offset1:5
	;; [unrolled: 1-line block ×3, first 2 shown]
	v_alignbit_b32 v9, v13, v14, 16
	v_alignbit_b32 v10, v14, v13, 16
	v_pack_b32_f16 v13, v112, v98
	v_pack_b32_f16 v14, v81, v123
	v_perm_b32 v16, v35, v8, 0x5040100
	v_perm_b32 v19, v33, v7, 0x5040100
	;; [unrolled: 1-line block ×4, first 2 shown]
	v_pack_b32_f16 v15, v15, v18
	ds_write2_b32 v17, v10, v9 offset0:8 offset1:9
	ds_write2_b32 v17, v14, v13 offset0:10 offset1:11
	;; [unrolled: 1-line block ×4, first 2 shown]
	ds_write_b32 v17, v15 offset:64
.LBB0_14:
	s_or_b32 exec_lo, exec_lo, s1
	v_add_nc_u32_e32 v9, 0x200, v29
	s_waitcnt lgkmcnt(0)
	s_barrier
	buffer_gl0_inv
	ds_read2_b32 v[13:14], v32 offset0:118 offset1:220
	ds_read2_b32 v[19:20], v9 offset0:110 offset1:178
	;; [unrolled: 1-line block ×5, first 2 shown]
	ds_read_b32 v4, v27
	ds_read_b32 v25, v29 offset:3400
	v_cmp_gt_u32_e64 s0, 34, v3
	s_and_saveexec_b32 s1, s0
	s_cbranch_execz .LBB0_16
; %bb.15:
	v_add_nc_u32_e32 v7, 0x300, v29
	v_add_nc_u32_e32 v11, 0xa80, v29
	ds_read2_b32 v[7:8], v7 offset0:12 offset1:250
	ds_read2_b32 v[11:12], v11 offset0:8 offset1:246
	s_waitcnt lgkmcnt(1)
	v_lshrrev_b32_e32 v33, 16, v7
	v_lshrrev_b32_e32 v35, 16, v8
	s_waitcnt lgkmcnt(0)
	v_lshrrev_b32_e32 v34, 16, v11
	v_lshrrev_b32_e32 v36, 16, v12
.LBB0_16:
	s_or_b32 exec_lo, exec_lo, s1
	v_and_b32_e32 v21, 0xff, v3
	v_add_nc_u16 v23, v3, 0x44
	v_mov_b32_e32 v32, 3
	s_waitcnt lgkmcnt(5)
	v_lshrrev_b32_e32 v53, 16, v19
	v_lshrrev_b32_e32 v54, 16, v14
	v_mul_lo_u16 v21, 0xf1, v21
	v_and_b32_e32 v22, 0xff, v23
	s_waitcnt lgkmcnt(4)
	v_lshrrev_b32_e32 v55, 16, v17
	v_lshrrev_b32_e32 v56, 16, v20
	s_waitcnt lgkmcnt(2)
	v_lshrrev_b32_e32 v57, 16, v15
	v_lshrrev_b16 v24, 12, v21
	v_add_nc_u16 v21, v3, 0x88
	v_mul_lo_u16 v31, 0xf1, v22
	v_lshrrev_b32_e32 v58, 16, v18
	s_waitcnt lgkmcnt(0)
	v_lshrrev_b32_e32 v52, 16, v25
	v_mul_lo_u16 v26, v24, 17
	v_and_b32_e32 v22, 0xff, v21
	v_and_b32_e32 v60, 0xffff, v24
	v_mov_b32_e32 v24, 2
	v_lshrrev_b32_e32 v59, 16, v13
	v_sub_nc_u16 v46, v3, v26
	v_lshrrev_b16 v26, 12, v31
	v_mul_lo_u16 v31, 0xf1, v22
	v_mad_u32_u24 v60, 0x110, v60, 0
	v_lshrrev_b32_e32 v63, 16, v16
	v_mul_u32_u24_sdwa v37, v46, v32 dst_sel:DWORD dst_unused:UNUSED_PAD src0_sel:BYTE_0 src1_sel:DWORD
	v_mul_lo_u16 v38, v26, 17
	v_lshrrev_b16 v31, 12, v31
	v_and_b32_e32 v61, 0xffff, v26
	v_lshlrev_b32_sdwa v46, v24, v46 dst_sel:DWORD dst_unused:UNUSED_PAD src0_sel:DWORD src1_sel:BYTE_0
	v_lshlrev_b32_e32 v37, 2, v37
	v_sub_nc_u16 v47, v23, v38
	v_mul_lo_u16 v23, v31, 17
	v_and_b32_e32 v31, 0xffff, v31
	v_mad_u32_u24 v61, 0x110, v61, 0
	global_load_dwordx3 v[37:39], v37, s[12:13]
	v_mul_u32_u24_sdwa v40, v47, v32 dst_sel:DWORD dst_unused:UNUSED_PAD src0_sel:BYTE_0 src1_sel:DWORD
	v_sub_nc_u16 v48, v21, v23
	v_mad_u32_u24 v62, 0x110, v31, 0
	v_lshlrev_b32_sdwa v47, v24, v47 dst_sel:DWORD dst_unused:UNUSED_PAD src0_sel:DWORD src1_sel:BYTE_0
	v_add3_u32 v46, v60, v46, v30
	v_lshlrev_b32_e32 v23, 2, v40
	v_mul_u32_u24_sdwa v43, v48, v32 dst_sel:DWORD dst_unused:UNUSED_PAD src0_sel:BYTE_0 src1_sel:DWORD
	v_lshlrev_b32_sdwa v48, v24, v48 dst_sel:DWORD dst_unused:UNUSED_PAD src0_sel:DWORD src1_sel:BYTE_0
	v_add3_u32 v47, v61, v47, v30
	v_lshrrev_b32_e32 v49, 16, v4
	global_load_dwordx3 v[40:42], v23, s[12:13]
	v_lshlrev_b32_e32 v23, 2, v43
	v_add3_u32 v48, v62, v48, v30
	v_lshrrev_b32_e32 v50, 16, v9
	v_lshrrev_b32_e32 v51, 16, v10
	s_load_dwordx2 s[2:3], s[2:3], 0x0
	global_load_dwordx3 v[43:45], v23, s[12:13]
	v_add_nc_u32_e32 v23, 0xcc, v3
	v_mov_b32_e32 v26, 0xf0f1
	s_waitcnt vmcnt(0) lgkmcnt(0)
	s_barrier
	buffer_gl0_inv
	v_mul_u32_u24_sdwa v31, v23, v26 dst_sel:DWORD dst_unused:UNUSED_PAD src0_sel:WORD_0 src1_sel:DWORD
	v_mul_f16_sdwa v60, v37, v53 dst_sel:DWORD dst_unused:UNUSED_PAD src0_sel:WORD_1 src1_sel:DWORD
	v_mul_f16_sdwa v61, v37, v19 dst_sel:DWORD dst_unused:UNUSED_PAD src0_sel:WORD_1 src1_sel:DWORD
	;; [unrolled: 1-line block ×6, first 2 shown]
	v_fma_f16 v19, v37, v19, -v60
	v_fmac_f16_e32 v61, v37, v53
	v_fma_f16 v14, v38, v14, -v62
	v_fmac_f16_e32 v64, v38, v54
	v_fma_f16 v17, v39, v17, -v65
	v_fmac_f16_e32 v66, v39, v55
	v_mul_f16_sdwa v37, v40, v56 dst_sel:DWORD dst_unused:UNUSED_PAD src0_sel:WORD_1 src1_sel:DWORD
	v_mul_f16_sdwa v38, v40, v20 dst_sel:DWORD dst_unused:UNUSED_PAD src0_sel:WORD_1 src1_sel:DWORD
	v_mul_f16_sdwa v39, v41, v57 dst_sel:DWORD dst_unused:UNUSED_PAD src0_sel:WORD_1 src1_sel:DWORD
	v_mul_f16_sdwa v53, v41, v15 dst_sel:DWORD dst_unused:UNUSED_PAD src0_sel:WORD_1 src1_sel:DWORD
	v_mul_f16_sdwa v54, v42, v58 dst_sel:DWORD dst_unused:UNUSED_PAD src0_sel:WORD_1 src1_sel:DWORD
	v_mul_f16_sdwa v55, v42, v18 dst_sel:DWORD dst_unused:UNUSED_PAD src0_sel:WORD_1 src1_sel:DWORD
	v_mul_f16_sdwa v60, v43, v59 dst_sel:DWORD dst_unused:UNUSED_PAD src0_sel:WORD_1 src1_sel:DWORD
	v_mul_f16_sdwa v62, v43, v13 dst_sel:DWORD dst_unused:UNUSED_PAD src0_sel:WORD_1 src1_sel:DWORD
	v_mul_f16_sdwa v65, v44, v63 dst_sel:DWORD dst_unused:UNUSED_PAD src0_sel:WORD_1 src1_sel:DWORD
	v_mul_f16_sdwa v67, v44, v16 dst_sel:DWORD dst_unused:UNUSED_PAD src0_sel:WORD_1 src1_sel:DWORD
	v_mul_f16_sdwa v68, v52, v45 dst_sel:DWORD dst_unused:UNUSED_PAD src0_sel:DWORD src1_sel:WORD_1
	v_mul_f16_sdwa v69, v25, v45 dst_sel:DWORD dst_unused:UNUSED_PAD src0_sel:DWORD src1_sel:WORD_1
	v_fma_f16 v20, v40, v20, -v37
	v_fmac_f16_e32 v38, v40, v56
	v_fma_f16 v15, v41, v15, -v39
	v_fmac_f16_e32 v53, v41, v57
	;; [unrolled: 2-line block ×5, first 2 shown]
	v_fma_f16 v25, v25, v45, -v68
	v_sub_f16_e32 v37, v49, v64
	v_sub_f16_e32 v39, v61, v66
	v_fmac_f16_e32 v69, v52, v45
	v_sub_f16_e32 v14, v4, v14
	v_sub_f16_e32 v17, v19, v17
	;; [unrolled: 1-line block ×6, first 2 shown]
	v_fma_f16 v40, v49, 2.0, -v37
	v_fma_f16 v41, v61, 2.0, -v39
	v_sub_f16_e32 v16, v10, v16
	v_sub_f16_e32 v44, v51, v67
	;; [unrolled: 1-line block ×4, first 2 shown]
	v_fma_f16 v4, v4, 2.0, -v14
	v_fma_f16 v19, v19, 2.0, -v17
	v_sub_f16_e32 v39, v14, v39
	v_add_f16_e32 v17, v37, v17
	v_fma_f16 v9, v9, 2.0, -v15
	v_fma_f16 v49, v50, 2.0, -v42
	;; [unrolled: 1-line block ×4, first 2 shown]
	v_sub_f16_e32 v41, v40, v41
	v_add_f16_e32 v18, v42, v18
	v_fma_f16 v10, v10, 2.0, -v16
	v_fma_f16 v50, v51, 2.0, -v44
	;; [unrolled: 1-line block ×4, first 2 shown]
	v_sub_f16_e32 v19, v4, v19
	v_fma_f16 v14, v14, 2.0, -v39
	v_fma_f16 v37, v37, 2.0, -v17
	v_sub_f16_e32 v43, v15, v43
	v_sub_f16_e32 v20, v9, v20
	;; [unrolled: 1-line block ×4, first 2 shown]
	v_add_f16_e32 v25, v44, v25
	v_pack_b32_f16 v17, v39, v17
	v_fma_f16 v39, v40, 2.0, -v41
	v_fma_f16 v40, v42, 2.0, -v18
	v_sub_f16_e32 v13, v10, v13
	v_sub_f16_e32 v42, v50, v51
	v_fma_f16 v4, v4, 2.0, -v19
	v_pack_b32_f16 v19, v19, v41
	v_fma_f16 v15, v15, 2.0, -v43
	v_pack_b32_f16 v14, v14, v37
	v_fma_f16 v9, v9, 2.0, -v20
	v_fma_f16 v37, v49, 2.0, -v38
	;; [unrolled: 1-line block ×6, first 2 shown]
	v_pack_b32_f16 v4, v4, v39
	v_pack_b32_f16 v18, v43, v18
	ds_write2_b32 v46, v19, v17 offset0:34 offset1:51
	v_pack_b32_f16 v17, v20, v38
	v_pack_b32_f16 v15, v15, v40
	;; [unrolled: 1-line block ×7, first 2 shown]
	ds_write2_b32 v46, v4, v14 offset1:17
	ds_write2_b32 v47, v17, v18 offset0:34 offset1:51
	ds_write2_b32 v47, v9, v15 offset1:17
	ds_write2_b32 v48, v10, v16 offset1:17
	ds_write2_b32 v48, v13, v25 offset0:34 offset1:51
	s_and_saveexec_b32 s1, s0
	s_cbranch_execz .LBB0_18
; %bb.17:
	v_lshrrev_b32_e32 v4, 20, v31
	v_mul_lo_u16 v4, v4, 17
	v_sub_nc_u16 v4, v23, v4
	v_mul_u32_u24_sdwa v9, v4, v32 dst_sel:DWORD dst_unused:UNUSED_PAD src0_sel:WORD_0 src1_sel:DWORD
	v_lshlrev_b32_sdwa v4, v24, v4 dst_sel:DWORD dst_unused:UNUSED_PAD src0_sel:DWORD src1_sel:WORD_0
	v_lshlrev_b32_e32 v9, 2, v9
	global_load_dwordx3 v[13:15], v9, s[12:13]
	v_and_b32_e32 v9, 0xff, v23
	v_mul_lo_u16 v9, 0xf1, v9
	v_lshrrev_b16 v9, 12, v9
	v_and_b32_e32 v9, 0xffff, v9
	v_mad_u32_u24 v9, 0x110, v9, 0
	v_add3_u32 v4, v9, v4, v30
	s_waitcnt vmcnt(0)
	v_mul_f16_sdwa v10, v34, v14 dst_sel:DWORD dst_unused:UNUSED_PAD src0_sel:DWORD src1_sel:WORD_1
	v_mul_f16_sdwa v16, v8, v13 dst_sel:DWORD dst_unused:UNUSED_PAD src0_sel:DWORD src1_sel:WORD_1
	v_mul_f16_sdwa v17, v12, v15 dst_sel:DWORD dst_unused:UNUSED_PAD src0_sel:DWORD src1_sel:WORD_1
	v_mul_f16_sdwa v18, v35, v13 dst_sel:DWORD dst_unused:UNUSED_PAD src0_sel:DWORD src1_sel:WORD_1
	v_mul_f16_sdwa v19, v36, v15 dst_sel:DWORD dst_unused:UNUSED_PAD src0_sel:DWORD src1_sel:WORD_1
	v_mul_f16_sdwa v20, v11, v14 dst_sel:DWORD dst_unused:UNUSED_PAD src0_sel:DWORD src1_sel:WORD_1
	v_fma_f16 v10, v11, v14, -v10
	v_fmac_f16_e32 v16, v35, v13
	v_fma_f16 v8, v8, v13, -v18
	v_fma_f16 v11, v12, v15, -v19
	v_fmac_f16_e32 v20, v34, v14
	v_fmac_f16_e32 v17, v36, v15
	v_sub_f16_e32 v10, v7, v10
	v_sub_f16_e32 v11, v8, v11
	;; [unrolled: 1-line block ×4, first 2 shown]
	v_fma_f16 v7, v7, 2.0, -v10
	v_fma_f16 v8, v8, 2.0, -v11
	;; [unrolled: 1-line block ×4, first 2 shown]
	v_sub_f16_e32 v13, v10, v13
	v_add_f16_e32 v11, v12, v11
	v_sub_f16_e32 v8, v7, v8
	v_sub_f16_e32 v15, v14, v15
	v_fma_f16 v10, v10, 2.0, -v13
	v_fma_f16 v12, v12, 2.0, -v11
	;; [unrolled: 1-line block ×3, first 2 shown]
	v_pack_b32_f16 v9, v13, v11
	v_fma_f16 v14, v14, 2.0, -v15
	v_pack_b32_f16 v8, v8, v15
	v_pack_b32_f16 v10, v10, v12
	;; [unrolled: 1-line block ×3, first 2 shown]
	ds_write2_b32 v4, v7, v10 offset1:17
	ds_write2_b32 v4, v8, v9 offset0:34 offset1:51
.LBB0_18:
	s_or_b32 exec_lo, exec_lo, s1
	v_mov_b32_e32 v4, 0
	v_add_nc_u32_e32 v9, 0x154, v3
	v_add_nc_u32_e32 v10, 0x198, v3
	v_lshrrev_b32_e32 v14, 22, v31
	v_add_nc_u32_e32 v11, 0x110, v3
	v_lshlrev_b64 v[7:8], 2, v[3:4]
	v_mul_u32_u24_sdwa v4, v9, v26 dst_sel:DWORD dst_unused:UNUSED_PAD src0_sel:WORD_0 src1_sel:DWORD
	v_mul_u32_u24_sdwa v12, v10, v26 dst_sel:DWORD dst_unused:UNUSED_PAD src0_sel:WORD_0 src1_sel:DWORD
	v_mul_lo_u16 v14, 0x44, v14
	v_mul_lo_u16 v13, 0x79, v22
	v_mul_u32_u24_sdwa v15, v11, v26 dst_sel:DWORD dst_unused:UNUSED_PAD src0_sel:WORD_0 src1_sel:DWORD
	v_lshrrev_b32_e32 v4, 22, v4
	v_lshrrev_b32_e32 v12, 22, v12
	v_sub_nc_u16 v14, v23, v14
	v_lshrrev_b16 v13, 13, v13
	v_lshrrev_b32_e32 v15, 22, v15
	v_mul_lo_u16 v4, 0x44, v4
	v_mul_lo_u16 v12, 0x44, v12
	v_lshlrev_b32_sdwa v19, v24, v14 dst_sel:DWORD dst_unused:UNUSED_PAD src0_sel:DWORD src1_sel:WORD_0
	v_mul_lo_u16 v13, 0x44, v13
	v_mul_lo_u16 v15, 0x44, v15
	v_sub_nc_u16 v4, v9, v4
	s_waitcnt lgkmcnt(0)
	s_barrier
	buffer_gl0_inv
	v_sub_nc_u16 v9, v10, v12
	global_load_dword v31, v19, s[12:13] offset:204
	v_sub_nc_u16 v10, v21, v13
	v_sub_nc_u16 v11, v11, v15
	v_lshlrev_b32_sdwa v23, v24, v4 dst_sel:DWORD dst_unused:UNUSED_PAD src0_sel:DWORD src1_sel:WORD_0
	v_lshlrev_b32_sdwa v25, v24, v9 dst_sel:DWORD dst_unused:UNUSED_PAD src0_sel:DWORD src1_sel:WORD_0
	v_add_co_u32 v9, s0, s12, v7
	v_lshlrev_b32_sdwa v26, v24, v10 dst_sel:DWORD dst_unused:UNUSED_PAD src0_sel:DWORD src1_sel:BYTE_0
	v_add_co_ci_u32_e64 v10, s0, s13, v8, s0
	v_lshlrev_b32_sdwa v24, v24, v11 dst_sel:DWORD dst_unused:UNUSED_PAD src0_sel:DWORD src1_sel:WORD_0
	s_clause 0x4
	global_load_dword v32, v23, s[12:13] offset:204
	global_load_dword v33, v25, s[12:13] offset:204
	;; [unrolled: 1-line block ×3, first 2 shown]
	global_load_dword v35, v[9:10], off offset:204
	global_load_dword v36, v24, s[12:13] offset:204
	v_add_nc_u32_e32 v37, 0x800, v29
	v_add_nc_u32_e32 v4, 0x600, v29
	;; [unrolled: 1-line block ×5, first 2 shown]
	ds_read2_b32 v[13:14], v37 offset0:100 offset1:168
	ds_read2_b32 v[11:12], v29 offset0:68 offset1:136
	ds_read_b32 v39, v27
	ds_read_b32 v40, v29 offset:3536
	ds_read2_b32 v[15:16], v4 offset0:92 offset1:160
	ds_read2_b32 v[17:18], v9 offset0:76 offset1:144
	v_add3_u32 v42, 0, v19, v30
	ds_read2_b32 v[19:20], v38 offset0:84 offset1:152
	ds_read2_b32 v[21:22], v10 offset0:108 offset1:176
	v_add3_u32 v26, 0, v26, v30
	v_add3_u32 v24, 0, v24, v30
	v_add3_u32 v23, 0, v23, v30
	v_add3_u32 v25, 0, v25, v30
	v_mul_u32_u24_e32 v41, 6, v3
	v_add_nc_u32_e32 v26, 0x400, v26
	v_add_nc_u32_e32 v42, 0x400, v42
	;; [unrolled: 1-line block ×3, first 2 shown]
	s_waitcnt vmcnt(0) lgkmcnt(0)
	v_lshlrev_b32_e32 v41, 2, v41
	s_barrier
	buffer_gl0_inv
	v_add_nc_u32_e32 v23, 0x800, v23
	v_add_nc_u32_e32 v25, 0xc00, v25
	s_add_u32 s1, s12, 0xe9c
	s_addc_u32 s4, s13, 0
	s_mov_b32 s5, exec_lo
	v_pk_mul_f16 v30, v31, v14 op_sel:[0,1]
	v_pk_fma_f16 v43, v31, v14, v30 op_sel:[0,0,1] op_sel_hi:[1,1,0] neg_lo:[0,0,1] neg_hi:[0,0,1]
	v_pk_fma_f16 v14, v31, v14, v30 op_sel:[0,0,1] op_sel_hi:[1,0,0]
	v_pk_mul_f16 v45, v22, v32 op_sel:[0,1]
	v_pk_mul_f16 v44, v40, v33 op_sel:[0,1]
	;; [unrolled: 1-line block ×5, first 2 shown]
	v_bfi_b32 v14, 0xffff, v43, v14
	v_pk_mul_f16 v43, v34, v13 op_sel:[0,1]
	v_pk_fma_f16 v47, v35, v15, v30 op_sel:[0,0,1] op_sel_hi:[1,1,0] neg_lo:[0,0,1] neg_hi:[0,0,1]
	v_pk_fma_f16 v15, v35, v15, v30 op_sel:[0,0,1] op_sel_hi:[1,0,0]
	v_pk_fma_f16 v30, v35, v16, v31 op_sel:[0,0,1] op_sel_hi:[1,1,0] neg_lo:[0,0,1] neg_hi:[0,0,1]
	v_pk_fma_f16 v16, v35, v16, v31 op_sel:[0,0,1] op_sel_hi:[1,0,0]
	;; [unrolled: 2-line block ×6, first 2 shown]
	v_bfi_b32 v15, 0xffff, v47, v15
	v_bfi_b32 v16, 0xffff, v30, v16
	;; [unrolled: 1-line block ×6, first 2 shown]
	v_pk_add_f16 v15, v39, v15 neg_lo:[0,1] neg_hi:[0,1]
	v_pk_add_f16 v16, v11, v16 neg_lo:[0,1] neg_hi:[0,1]
	;; [unrolled: 1-line block ×7, first 2 shown]
	v_pk_fma_f16 v31, v39, 2.0, v15 op_sel_hi:[1,0,1] neg_lo:[0,0,1] neg_hi:[0,0,1]
	v_pk_fma_f16 v11, v11, 2.0, v16 op_sel_hi:[1,0,1] neg_lo:[0,0,1] neg_hi:[0,0,1]
	;; [unrolled: 1-line block ×7, first 2 shown]
	ds_write2_b32 v29, v31, v15 offset1:68
	ds_write2_b32 v29, v11, v16 offset0:136 offset1:204
	ds_write2_b32 v26, v12, v13 offset0:16 offset1:84
	;; [unrolled: 1-line block ×6, first 2 shown]
	v_add_co_u32 v15, s0, s12, v41
	v_add_co_ci_u32_e64 v16, null, s13, 0, s0
	s_waitcnt lgkmcnt(0)
	v_add_co_u32 v19, s0, 0x660, v15
	v_add_co_ci_u32_e64 v20, s0, 0, v16, s0
	s_barrier
	buffer_gl0_inv
	s_clause 0x3
	global_load_dwordx4 v[11:14], v41, s[12:13] offset:476
	global_load_dwordx2 v[21:22], v41, s[12:13] offset:492
	global_load_dwordx4 v[15:18], v[19:20], off offset:476
	global_load_dwordx2 v[19:20], v[19:20], off offset:492
	ds_read2_b32 v[23:24], v10 offset0:108 offset1:176
	ds_read2_b32 v[25:26], v9 offset0:76 offset1:144
	;; [unrolled: 1-line block ×5, first 2 shown]
	ds_read_b32 v38, v29 offset:3536
	ds_read2_b32 v[36:37], v29 offset0:68 offset1:136
	ds_read_b32 v39, v27
	s_waitcnt vmcnt(0) lgkmcnt(0)
	s_barrier
	buffer_gl0_inv
	v_lshrrev_b32_e32 v40, 16, v24
	v_lshrrev_b32_e32 v48, 16, v26
	;; [unrolled: 1-line block ×12, first 2 shown]
	v_mul_f16_sdwa v60, v21, v51 dst_sel:DWORD dst_unused:UNUSED_PAD src0_sel:WORD_1 src1_sel:DWORD
	v_mul_f16_sdwa v52, v11, v47 dst_sel:DWORD dst_unused:UNUSED_PAD src0_sel:WORD_1 src1_sel:DWORD
	;; [unrolled: 1-line block ×10, first 2 shown]
	v_mul_f16_sdwa v62, v40, v22 dst_sel:DWORD dst_unused:UNUSED_PAD src0_sel:DWORD src1_sel:WORD_1
	v_mul_f16_sdwa v63, v24, v22 dst_sel:DWORD dst_unused:UNUSED_PAD src0_sel:DWORD src1_sel:WORD_1
	v_mul_f16_sdwa v64, v41, v15 dst_sel:DWORD dst_unused:UNUSED_PAD src0_sel:DWORD src1_sel:WORD_1
	v_mul_f16_sdwa v65, v25, v15 dst_sel:DWORD dst_unused:UNUSED_PAD src0_sel:DWORD src1_sel:WORD_1
	v_mul_f16_sdwa v66, v42, v16 dst_sel:DWORD dst_unused:UNUSED_PAD src0_sel:DWORD src1_sel:WORD_1
	v_mul_f16_sdwa v67, v30, v16 dst_sel:DWORD dst_unused:UNUSED_PAD src0_sel:DWORD src1_sel:WORD_1
	v_mul_f16_sdwa v68, v43, v17 dst_sel:DWORD dst_unused:UNUSED_PAD src0_sel:DWORD src1_sel:WORD_1
	v_mul_f16_sdwa v69, v32, v17 dst_sel:DWORD dst_unused:UNUSED_PAD src0_sel:DWORD src1_sel:WORD_1
	v_mul_f16_sdwa v70, v44, v18 dst_sel:DWORD dst_unused:UNUSED_PAD src0_sel:DWORD src1_sel:WORD_1
	v_mul_f16_sdwa v71, v34, v18 dst_sel:DWORD dst_unused:UNUSED_PAD src0_sel:DWORD src1_sel:WORD_1
	v_mul_f16_sdwa v72, v45, v19 dst_sel:DWORD dst_unused:UNUSED_PAD src0_sel:DWORD src1_sel:WORD_1
	v_mul_f16_sdwa v73, v23, v19 dst_sel:DWORD dst_unused:UNUSED_PAD src0_sel:DWORD src1_sel:WORD_1
	v_mul_f16_sdwa v74, v46, v20 dst_sel:DWORD dst_unused:UNUSED_PAD src0_sel:DWORD src1_sel:WORD_1
	v_mul_f16_sdwa v75, v38, v20 dst_sel:DWORD dst_unused:UNUSED_PAD src0_sel:DWORD src1_sel:WORD_1
	v_fma_f16 v37, v11, v37, -v52
	v_fmac_f16_e32 v53, v11, v47
	v_fma_f16 v11, v12, v26, -v54
	v_fmac_f16_e32 v55, v12, v48
	;; [unrolled: 2-line block ×12, first 2 shown]
	v_add_f16_e32 v20, v37, v21
	v_add_f16_e32 v23, v53, v63
	;; [unrolled: 1-line block ×4, first 2 shown]
	v_sub_f16_e32 v21, v37, v21
	v_sub_f16_e32 v24, v53, v63
	v_sub_f16_e32 v11, v11, v14
	v_sub_f16_e32 v14, v55, v61
	v_add_f16_e32 v30, v12, v13
	v_add_f16_e32 v31, v57, v59
	v_sub_f16_e32 v12, v13, v12
	v_sub_f16_e32 v13, v59, v57
	v_add_f16_e32 v32, v22, v19
	v_add_f16_e32 v33, v65, v75
	;; [unrolled: 1-line block ×4, first 2 shown]
	v_sub_f16_e32 v19, v22, v19
	v_sub_f16_e32 v22, v65, v75
	;; [unrolled: 1-line block ×4, first 2 shown]
	v_add_f16_e32 v37, v16, v17
	v_sub_f16_e32 v16, v17, v16
	v_sub_f16_e32 v17, v71, v69
	v_add_f16_e32 v40, v25, v20
	v_add_f16_e32 v41, v26, v23
	;; [unrolled: 1-line block ×3, first 2 shown]
	v_sub_f16_e32 v42, v25, v20
	v_sub_f16_e32 v43, v26, v23
	;; [unrolled: 1-line block ×6, first 2 shown]
	v_add_f16_e32 v44, v12, v11
	v_add_f16_e32 v45, v13, v14
	v_sub_f16_e32 v46, v12, v11
	v_sub_f16_e32 v47, v13, v14
	;; [unrolled: 1-line block ×4, first 2 shown]
	v_add_f16_e32 v48, v34, v32
	v_add_f16_e32 v49, v35, v33
	v_sub_f16_e32 v50, v34, v32
	v_sub_f16_e32 v34, v37, v34
	v_add_f16_e32 v52, v16, v15
	v_add_f16_e32 v53, v17, v18
	v_sub_f16_e32 v54, v16, v15
	v_sub_f16_e32 v55, v17, v18
	;; [unrolled: 1-line block ×4, first 2 shown]
	v_add_f16_e32 v30, v30, v40
	v_add_f16_e32 v31, v31, v41
	v_sub_f16_e32 v12, v21, v12
	v_sub_f16_e32 v13, v24, v13
	;; [unrolled: 1-line block ×6, first 2 shown]
	v_add_f16_e32 v21, v44, v21
	v_add_f16_e32 v24, v45, v24
	v_mul_f16_e32 v20, 0x3a52, v20
	v_mul_f16_e32 v23, 0x3a52, v23
	;; [unrolled: 1-line block ×8, first 2 shown]
	v_add_f16_e32 v37, v37, v48
	v_add_f16_e32 v38, v38, v49
	v_sub_f16_e32 v16, v19, v16
	v_sub_f16_e32 v17, v22, v17
	v_add_f16_e32 v19, v52, v19
	v_add_f16_e32 v22, v53, v22
	v_mul_f16_e32 v48, 0x2b26, v34
	v_mul_f16_e32 v52, 0xb846, v54
	;; [unrolled: 1-line block ×5, first 2 shown]
	v_add_f16_e32 v56, v30, v39
	v_add_f16_sdwa v39, v31, v39 dst_sel:DWORD dst_unused:UNUSED_PAD src0_sel:DWORD src1_sel:WORD_1
	v_mul_f16_e32 v32, 0x3a52, v32
	v_mul_f16_e32 v33, 0x3a52, v33
	;; [unrolled: 1-line block ×3, first 2 shown]
	v_fmamk_f16 v25, v25, 0x2b26, v20
	v_fmamk_f16 v26, v26, 0x2b26, v23
	v_fma_f16 v40, v42, 0x39e0, -v40
	v_fma_f16 v41, v43, 0x39e0, -v41
	;; [unrolled: 1-line block ×4, first 2 shown]
	v_fmamk_f16 v42, v12, 0x3574, v44
	v_fmamk_f16 v43, v13, 0x3574, v45
	v_fma_f16 v11, v11, 0x3b00, -v44
	v_fma_f16 v14, v14, 0x3b00, -v45
	;; [unrolled: 1-line block ×4, first 2 shown]
	v_add_f16_e32 v44, v37, v36
	v_add_f16_sdwa v36, v38, v36 dst_sel:DWORD dst_unused:UNUSED_PAD src0_sel:DWORD src1_sel:WORD_1
	v_fma_f16 v45, v50, 0x39e0, -v48
	v_fmamk_f16 v47, v16, 0x3574, v52
	v_fmamk_f16 v48, v17, 0x3574, v53
	v_fma_f16 v15, v15, 0x3b00, -v52
	v_fma_f16 v18, v18, 0x3b00, -v53
	;; [unrolled: 1-line block ×4, first 2 shown]
	v_fmamk_f16 v30, v30, 0xbcab, v56
	v_fmamk_f16 v31, v31, 0xbcab, v39
	;; [unrolled: 1-line block ×4, first 2 shown]
	v_fma_f16 v46, v51, 0x39e0, -v49
	v_fma_f16 v32, v50, 0xb9e0, -v32
	;; [unrolled: 1-line block ×3, first 2 shown]
	v_fmac_f16_e32 v42, 0x370e, v21
	v_fmac_f16_e32 v43, 0x370e, v24
	;; [unrolled: 1-line block ×6, first 2 shown]
	v_fmamk_f16 v21, v37, 0xbcab, v44
	v_fmamk_f16 v24, v38, 0xbcab, v36
	v_fmac_f16_e32 v47, 0x370e, v19
	v_fmac_f16_e32 v48, 0x370e, v22
	;; [unrolled: 1-line block ×6, first 2 shown]
	v_pack_b32_f16 v19, v56, v39
	v_pack_b32_f16 v22, v44, v36
	v_add_f16_e32 v25, v25, v30
	v_add_f16_e32 v26, v26, v31
	;; [unrolled: 1-line block ×12, first 2 shown]
	ds_write2_b32 v29, v19, v22 offset1:68
	v_add_f16_e32 v19, v43, v25
	v_sub_f16_e32 v22, v26, v42
	v_add_f16_e32 v29, v13, v20
	v_sub_f16_e32 v32, v23, v12
	v_sub_f16_e32 v33, v36, v14
	v_add_f16_e32 v38, v11, v37
	v_add_f16_e32 v14, v14, v36
	v_sub_f16_e32 v11, v37, v11
	v_sub_f16_e32 v13, v20, v13
	v_add_f16_e32 v12, v12, v23
	v_sub_f16_e32 v20, v25, v43
	v_add_f16_e32 v23, v42, v26
	v_add_f16_e32 v25, v48, v30
	v_sub_f16_e32 v26, v31, v47
	v_add_f16_e32 v36, v17, v21
	v_sub_f16_e32 v37, v24, v16
	v_sub_f16_e32 v39, v34, v18
	v_add_f16_e32 v40, v15, v35
	v_add_f16_e32 v18, v18, v34
	v_sub_f16_e32 v15, v35, v15
	v_sub_f16_e32 v17, v21, v17
	v_add_f16_e32 v16, v16, v24
	v_sub_f16_e32 v21, v30, v48
	v_add_f16_e32 v24, v47, v31
	v_pack_b32_f16 v19, v19, v22
	v_pack_b32_f16 v22, v29, v32
	;; [unrolled: 1-line block ×12, first 2 shown]
	ds_write2_b32 v9, v19, v22 offset0:8 offset1:144
	ds_write2_b32 v4, v29, v11 offset0:24 offset1:160
	;; [unrolled: 1-line block ×6, first 2 shown]
	s_waitcnt lgkmcnt(0)
	s_barrier
	buffer_gl0_inv
	ds_read_b32 v12, v27
	v_sub_nc_u32_e32 v4, v0, v28
                                        ; implicit-def: $vgpr10
                                        ; implicit-def: $vgpr9
                                        ; implicit-def: $vgpr11
	v_cmpx_ne_u32_e32 0, v3
	s_xor_b32 s5, exec_lo, s5
	s_cbranch_execz .LBB0_20
; %bb.19:
	v_add_co_u32 v9, s0, s1, v7
	v_add_co_ci_u32_e64 v10, s0, s4, v8, s0
	global_load_dword v9, v[9:10], off
	ds_read_b32 v10, v4 offset:3808
	s_waitcnt lgkmcnt(0)
	v_pk_add_f16 v11, v12, v10 neg_lo:[0,1] neg_hi:[0,1]
	v_pk_add_f16 v10, v10, v12
	v_bfi_b32 v12, 0xffff, v11, v10
	v_bfi_b32 v10, 0xffff, v10, v11
	v_pk_mul_f16 v12, v12, 0.5 op_sel_hi:[1,0]
	v_pk_mul_f16 v13, v10, 0.5 op_sel_hi:[1,0]
	s_waitcnt vmcnt(0)
	v_pk_mul_f16 v11, v9, v12 op_sel:[1,0]
	v_pk_mul_f16 v12, v9, v12 op_sel_hi:[0,1]
	v_pk_fma_f16 v9, v10, 0.5, v11 op_sel_hi:[1,0,1]
	v_sub_f16_e32 v10, v13, v11
	v_sub_f16_sdwa v11, v11, v13 dst_sel:DWORD dst_unused:UNUSED_PAD src0_sel:WORD_1 src1_sel:WORD_1
	v_pk_add_f16 v14, v9, v12 op_sel:[0,1] op_sel_hi:[1,0]
	v_pk_add_f16 v15, v9, v12 op_sel:[0,1] op_sel_hi:[1,0] neg_lo:[0,1] neg_hi:[0,1]
	v_sub_f16_sdwa v9, v10, v12 dst_sel:DWORD dst_unused:UNUSED_PAD src0_sel:DWORD src1_sel:WORD_1
	v_sub_f16_e32 v11, v11, v12
                                        ; implicit-def: $vgpr12
	v_bfi_b32 v10, 0xffff, v14, v15
.LBB0_20:
	s_andn2_saveexec_b32 s0, s5
	s_cbranch_execz .LBB0_22
; %bb.21:
	ds_read_u16 v10, v0 offset:1906
	s_waitcnt lgkmcnt(1)
	v_alignbit_b32 v9, s0, v12, 16
	v_pk_add_f16 v11, v9, v12
	v_sub_f16_sdwa v9, v12, v12 dst_sel:DWORD dst_unused:UNUSED_PAD src0_sel:DWORD src1_sel:WORD_1
	s_waitcnt lgkmcnt(0)
	v_xor_b32_e32 v12, 0x8000, v10
	v_pack_b32_f16 v10, v11, 0
	v_mov_b32_e32 v11, 0
	ds_write_b16 v0, v12 offset:1906
.LBB0_22:
	s_or_b32 exec_lo, exec_lo, s0
	v_add_co_u32 v7, s0, s1, v7
	v_add_co_ci_u32_e64 v8, s0, s4, v8, s0
	s_waitcnt lgkmcnt(0)
	s_clause 0x4
	global_load_dword v12, v[7:8], off offset:272
	global_load_dword v13, v[7:8], off offset:544
	;; [unrolled: 1-line block ×5, first 2 shown]
	ds_write_b16 v4, v11 offset:3810
	ds_write_b32 v27, v10
	ds_write_b16 v4, v9 offset:3808
	ds_read_b32 v9, v27 offset:272
	ds_read_b32 v10, v4 offset:3536
	global_load_dword v7, v[7:8], off offset:1632
	s_waitcnt lgkmcnt(0)
	v_pk_add_f16 v8, v9, v10 neg_lo:[0,1] neg_hi:[0,1]
	v_pk_add_f16 v9, v9, v10
	v_bfi_b32 v10, 0xffff, v8, v9
	v_bfi_b32 v8, 0xffff, v9, v8
	v_pk_mul_f16 v10, v10, 0.5 op_sel_hi:[1,0]
	v_pk_mul_f16 v11, v8, 0.5 op_sel_hi:[1,0]
	s_waitcnt vmcnt(5)
	v_pk_mul_f16 v9, v12, v10 op_sel:[1,0]
	v_pk_mul_f16 v10, v12, v10 op_sel_hi:[0,1]
	v_pk_fma_f16 v8, v8, 0.5, v9 op_sel_hi:[1,0,1]
	v_sub_f16_sdwa v12, v9, v11 dst_sel:DWORD dst_unused:UNUSED_PAD src0_sel:WORD_1 src1_sel:WORD_1
	v_sub_f16_e32 v9, v11, v9
	v_pk_add_f16 v17, v8, v10 op_sel:[0,1] op_sel_hi:[1,0]
	v_pk_add_f16 v8, v8, v10 op_sel:[0,1] op_sel_hi:[1,0] neg_lo:[0,1] neg_hi:[0,1]
	v_sub_f16_e32 v11, v12, v10
	v_sub_f16_sdwa v9, v9, v10 dst_sel:DWORD dst_unused:UNUSED_PAD src0_sel:DWORD src1_sel:WORD_1
	v_bfi_b32 v8, 0xffff, v17, v8
	ds_write_b16 v4, v11 offset:3538
	ds_write_b32 v27, v8 offset:272
	ds_write_b16 v4, v9 offset:3536
	ds_read_b32 v8, v27 offset:544
	ds_read_b32 v9, v4 offset:3264
	s_waitcnt lgkmcnt(0)
	v_pk_add_f16 v10, v8, v9 neg_lo:[0,1] neg_hi:[0,1]
	v_pk_add_f16 v8, v8, v9
	v_bfi_b32 v9, 0xffff, v10, v8
	v_bfi_b32 v8, 0xffff, v8, v10
	v_pk_mul_f16 v9, v9, 0.5 op_sel_hi:[1,0]
	v_pk_mul_f16 v11, v8, 0.5 op_sel_hi:[1,0]
	s_waitcnt vmcnt(4)
	v_pk_mul_f16 v10, v13, v9 op_sel:[1,0]
	v_pk_mul_f16 v9, v13, v9 op_sel_hi:[0,1]
	v_pk_fma_f16 v8, v8, 0.5, v10 op_sel_hi:[1,0,1]
	v_sub_f16_sdwa v12, v10, v11 dst_sel:DWORD dst_unused:UNUSED_PAD src0_sel:WORD_1 src1_sel:WORD_1
	v_sub_f16_e32 v10, v11, v10
	v_pk_add_f16 v13, v8, v9 op_sel:[0,1] op_sel_hi:[1,0]
	v_pk_add_f16 v8, v8, v9 op_sel:[0,1] op_sel_hi:[1,0] neg_lo:[0,1] neg_hi:[0,1]
	v_sub_f16_e32 v11, v12, v9
	v_sub_f16_sdwa v9, v10, v9 dst_sel:DWORD dst_unused:UNUSED_PAD src0_sel:DWORD src1_sel:WORD_1
	v_bfi_b32 v8, 0xffff, v13, v8
	ds_write_b16 v4, v11 offset:3266
	ds_write_b32 v27, v8 offset:544
	ds_write_b16 v4, v9 offset:3264
	ds_read_b32 v8, v27 offset:816
	ds_read_b32 v9, v4 offset:2992
	;; [unrolled: 23-line block ×4, first 2 shown]
	s_waitcnt lgkmcnt(0)
	v_pk_add_f16 v10, v8, v9 neg_lo:[0,1] neg_hi:[0,1]
	v_pk_add_f16 v8, v8, v9
	v_bfi_b32 v9, 0xffff, v10, v8
	v_bfi_b32 v8, 0xffff, v8, v10
	v_pk_mul_f16 v9, v9, 0.5 op_sel_hi:[1,0]
	v_pk_mul_f16 v8, v8, 0.5 op_sel_hi:[1,0]
	s_waitcnt vmcnt(1)
	v_pk_mul_f16 v11, v16, v9 op_sel_hi:[0,1]
	v_pk_fma_f16 v10, v16, v9, v8 op_sel:[1,0,0]
	v_pk_fma_f16 v12, v16, v9, v8 op_sel:[1,0,0] neg_lo:[1,0,0] neg_hi:[1,0,0]
	v_pk_fma_f16 v8, v16, v9, v8 op_sel:[1,0,0] neg_lo:[0,0,1] neg_hi:[0,0,1]
	v_pk_add_f16 v9, v10, v11 op_sel:[0,1] op_sel_hi:[1,0]
	v_pk_add_f16 v10, v10, v11 op_sel:[0,1] op_sel_hi:[1,0] neg_lo:[0,1] neg_hi:[0,1]
	v_pk_add_f16 v12, v12, v11 op_sel:[0,1] op_sel_hi:[1,0] neg_lo:[0,1] neg_hi:[0,1]
	;; [unrolled: 1-line block ×3, first 2 shown]
	v_bfi_b32 v9, 0xffff, v9, v10
	v_bfi_b32 v8, 0xffff, v12, v8
	ds_write_b32 v27, v9 offset:1360
	ds_write_b32 v4, v8 offset:2448
	ds_read_b32 v8, v27 offset:1632
	ds_read_b32 v9, v4 offset:2176
	s_waitcnt lgkmcnt(0)
	v_pk_add_f16 v10, v8, v9 neg_lo:[0,1] neg_hi:[0,1]
	v_pk_add_f16 v8, v8, v9
	v_bfi_b32 v9, 0xffff, v10, v8
	v_bfi_b32 v8, 0xffff, v8, v10
	v_pk_mul_f16 v9, v9, 0.5 op_sel_hi:[1,0]
	v_pk_mul_f16 v8, v8, 0.5 op_sel_hi:[1,0]
	s_waitcnt vmcnt(0)
	v_pk_mul_f16 v11, v7, v9 op_sel_hi:[0,1]
	v_pk_fma_f16 v10, v7, v9, v8 op_sel:[1,0,0]
	v_pk_fma_f16 v12, v7, v9, v8 op_sel:[1,0,0] neg_lo:[1,0,0] neg_hi:[1,0,0]
	v_pk_fma_f16 v7, v7, v9, v8 op_sel:[1,0,0] neg_lo:[0,0,1] neg_hi:[0,0,1]
	v_pk_add_f16 v8, v10, v11 op_sel:[0,1] op_sel_hi:[1,0]
	v_pk_add_f16 v9, v10, v11 op_sel:[0,1] op_sel_hi:[1,0] neg_lo:[0,1] neg_hi:[0,1]
	v_pk_add_f16 v10, v12, v11 op_sel:[0,1] op_sel_hi:[1,0] neg_lo:[0,1] neg_hi:[0,1]
	;; [unrolled: 1-line block ×3, first 2 shown]
	v_bfi_b32 v8, 0xffff, v8, v9
	v_bfi_b32 v7, 0xffff, v10, v7
	ds_write_b32 v27, v8 offset:1632
	ds_write_b32 v4, v7 offset:2176
	s_waitcnt lgkmcnt(0)
	s_barrier
	buffer_gl0_inv
	s_and_saveexec_b32 s0, vcc_lo
	s_cbranch_execz .LBB0_25
; %bb.23:
	v_mul_lo_u32 v4, s3, v5
	v_mul_lo_u32 v7, s2, v6
	v_mad_u64_u32 v[5:6], null, s2, v5, 0
	v_lshl_add_u32 v0, v3, 2, v0
	v_lshlrev_b64 v[1:2], 2, v[1:2]
	v_add_nc_u32_e32 v9, 0x88, v3
	v_add_nc_u32_e32 v15, 0x154, v3
	;; [unrolled: 1-line block ×3, first 2 shown]
	ds_read2_b32 v[11:12], v0 offset1:68
	v_add3_u32 v6, v6, v7, v4
	v_mov_b32_e32 v4, 0
	v_add_nc_u32_e32 v7, 0x44, v3
	v_add_nc_u32_e32 v19, 0x400, v0
	v_lshlrev_b64 v[5:6], 2, v[5:6]
	v_mov_b32_e32 v8, v4
	v_lshlrev_b64 v[13:14], 2, v[3:4]
	v_mov_b32_e32 v10, v4
	v_mov_b32_e32 v16, v4
	;; [unrolled: 1-line block ×3, first 2 shown]
	v_add_co_u32 v5, vcc_lo, s10, v5
	v_add_co_ci_u32_e32 v6, vcc_lo, s11, v6, vcc_lo
	v_lshlrev_b64 v[15:16], 2, v[15:16]
	v_add_co_u32 v1, vcc_lo, v5, v1
	v_add_co_ci_u32_e32 v2, vcc_lo, v6, v2, vcc_lo
	v_lshlrev_b64 v[5:6], 2, v[7:8]
	v_add_co_u32 v7, vcc_lo, v1, v13
	v_add_co_ci_u32_e32 v8, vcc_lo, v2, v14, vcc_lo
	v_add_nc_u32_e32 v13, 0xcc, v3
	v_add_co_u32 v5, vcc_lo, v1, v5
	v_add_co_ci_u32_e32 v6, vcc_lo, v2, v6, vcc_lo
	v_mov_b32_e32 v14, v4
	s_waitcnt lgkmcnt(0)
	global_store_dword v[7:8], v11, off
	global_store_dword v[5:6], v12, off
	ds_read2_b32 v[5:6], v0 offset0:136 offset1:204
	v_lshlrev_b64 v[7:8], 2, v[9:10]
	v_lshlrev_b64 v[9:10], 2, v[13:14]
	ds_read2_b32 v[13:14], v19 offset0:16 offset1:84
	v_add_nc_u32_e32 v11, 0x110, v3
	v_mov_b32_e32 v12, v4
	ds_read2_b32 v[19:20], v19 offset0:152 offset1:220
	v_add_co_u32 v7, vcc_lo, v1, v7
	v_add_co_ci_u32_e32 v8, vcc_lo, v2, v8, vcc_lo
	v_lshlrev_b64 v[11:12], 2, v[11:12]
	v_add_co_u32 v9, vcc_lo, v1, v9
	v_add_co_ci_u32_e32 v10, vcc_lo, v2, v10, vcc_lo
	v_add_co_u32 v11, vcc_lo, v1, v11
	v_add_co_ci_u32_e32 v12, vcc_lo, v2, v12, vcc_lo
	s_waitcnt lgkmcnt(2)
	global_store_dword v[7:8], v5, off
	global_store_dword v[9:10], v6, off
	s_waitcnt lgkmcnt(1)
	global_store_dword v[11:12], v13, off
	v_lshlrev_b64 v[5:6], 2, v[17:18]
	v_add_co_u32 v7, vcc_lo, v1, v15
	v_add_co_ci_u32_e32 v8, vcc_lo, v2, v16, vcc_lo
	v_add_nc_u32_e32 v15, 0x800, v0
	v_add_co_u32 v5, vcc_lo, v1, v5
	v_add_co_ci_u32_e32 v6, vcc_lo, v2, v6, vcc_lo
	v_add_nc_u32_e32 v9, 0x1dc, v3
	v_mov_b32_e32 v10, v4
	v_add_nc_u32_e32 v11, 0x220, v3
	v_mov_b32_e32 v12, v4
	global_store_dword v[7:8], v14, off
	s_waitcnt lgkmcnt(0)
	global_store_dword v[5:6], v19, off
	ds_read2_b32 v[7:8], v15 offset0:32 offset1:100
	v_lshlrev_b64 v[5:6], 2, v[9:10]
	v_add_nc_u32_e32 v13, 0x2a8, v3
	v_lshlrev_b64 v[9:10], 2, v[11:12]
	v_add_nc_u32_e32 v11, 0x264, v3
	v_mov_b32_e32 v14, v4
	v_mov_b32_e32 v16, v4
	v_add_co_u32 v5, vcc_lo, v1, v5
	v_lshlrev_b64 v[11:12], 2, v[11:12]
	v_add_co_ci_u32_e32 v6, vcc_lo, v2, v6, vcc_lo
	v_add_co_u32 v9, vcc_lo, v1, v9
	v_add_co_ci_u32_e32 v10, vcc_lo, v2, v10, vcc_lo
	v_add_co_u32 v11, vcc_lo, v1, v11
	v_add_co_ci_u32_e32 v12, vcc_lo, v2, v12, vcc_lo
	global_store_dword v[5:6], v20, off
	s_waitcnt lgkmcnt(0)
	global_store_dword v[9:10], v7, off
	global_store_dword v[11:12], v8, off
	v_add_nc_u32_e32 v9, 0x2ec, v3
	v_mov_b32_e32 v10, v4
	v_lshlrev_b64 v[7:8], 2, v[13:14]
	v_add_nc_u32_e32 v13, 0xc00, v0
	v_add_nc_u32_e32 v11, 0x330, v3
	v_mov_b32_e32 v12, v4
	ds_read2_b32 v[5:6], v15 offset0:168 offset1:236
	v_lshlrev_b64 v[9:10], 2, v[9:10]
	v_add_nc_u32_e32 v15, 0x374, v3
	ds_read2_b32 v[13:14], v13 offset0:48 offset1:116
	v_add_co_u32 v7, vcc_lo, v1, v7
	v_lshlrev_b64 v[11:12], 2, v[11:12]
	v_add_co_ci_u32_e32 v8, vcc_lo, v2, v8, vcc_lo
	v_add_co_u32 v9, vcc_lo, v1, v9
	v_lshlrev_b64 v[15:16], 2, v[15:16]
	v_add_co_ci_u32_e32 v10, vcc_lo, v2, v10, vcc_lo
	v_add_co_u32 v11, vcc_lo, v1, v11
	v_add_co_ci_u32_e32 v12, vcc_lo, v2, v12, vcc_lo
	v_add_co_u32 v15, vcc_lo, v1, v15
	v_add_co_ci_u32_e32 v16, vcc_lo, v2, v16, vcc_lo
	v_cmp_eq_u32_e32 vcc_lo, 0x43, v3
	s_waitcnt lgkmcnt(1)
	global_store_dword v[7:8], v5, off
	global_store_dword v[9:10], v6, off
	s_waitcnt lgkmcnt(0)
	global_store_dword v[11:12], v13, off
	global_store_dword v[15:16], v14, off
	s_and_b32 exec_lo, exec_lo, vcc_lo
	s_cbranch_execz .LBB0_25
; %bb.24:
	ds_read_b32 v3, v0 offset:3540
	v_add_co_u32 v0, vcc_lo, 0x800, v1
	v_add_co_ci_u32_e32 v1, vcc_lo, 0, v2, vcc_lo
	s_waitcnt lgkmcnt(0)
	global_store_dword v[0:1], v3, off offset:1760
.LBB0_25:
	s_endpgm
	.section	.rodata,"a",@progbits
	.p2align	6, 0x0
	.amdhsa_kernel fft_rtc_fwd_len952_factors_17_4_2_7_wgs_204_tpt_68_halfLds_half_op_CI_CI_unitstride_sbrr_R2C_dirReg
		.amdhsa_group_segment_fixed_size 0
		.amdhsa_private_segment_fixed_size 0
		.amdhsa_kernarg_size 104
		.amdhsa_user_sgpr_count 6
		.amdhsa_user_sgpr_private_segment_buffer 1
		.amdhsa_user_sgpr_dispatch_ptr 0
		.amdhsa_user_sgpr_queue_ptr 0
		.amdhsa_user_sgpr_kernarg_segment_ptr 1
		.amdhsa_user_sgpr_dispatch_id 0
		.amdhsa_user_sgpr_flat_scratch_init 0
		.amdhsa_user_sgpr_private_segment_size 0
		.amdhsa_wavefront_size32 1
		.amdhsa_uses_dynamic_stack 0
		.amdhsa_system_sgpr_private_segment_wavefront_offset 0
		.amdhsa_system_sgpr_workgroup_id_x 1
		.amdhsa_system_sgpr_workgroup_id_y 0
		.amdhsa_system_sgpr_workgroup_id_z 0
		.amdhsa_system_sgpr_workgroup_info 0
		.amdhsa_system_vgpr_workitem_id 0
		.amdhsa_next_free_vgpr 172
		.amdhsa_next_free_sgpr 27
		.amdhsa_reserve_vcc 1
		.amdhsa_reserve_flat_scratch 0
		.amdhsa_float_round_mode_32 0
		.amdhsa_float_round_mode_16_64 0
		.amdhsa_float_denorm_mode_32 3
		.amdhsa_float_denorm_mode_16_64 3
		.amdhsa_dx10_clamp 1
		.amdhsa_ieee_mode 1
		.amdhsa_fp16_overflow 0
		.amdhsa_workgroup_processor_mode 1
		.amdhsa_memory_ordered 1
		.amdhsa_forward_progress 0
		.amdhsa_shared_vgpr_count 0
		.amdhsa_exception_fp_ieee_invalid_op 0
		.amdhsa_exception_fp_denorm_src 0
		.amdhsa_exception_fp_ieee_div_zero 0
		.amdhsa_exception_fp_ieee_overflow 0
		.amdhsa_exception_fp_ieee_underflow 0
		.amdhsa_exception_fp_ieee_inexact 0
		.amdhsa_exception_int_div_zero 0
	.end_amdhsa_kernel
	.text
.Lfunc_end0:
	.size	fft_rtc_fwd_len952_factors_17_4_2_7_wgs_204_tpt_68_halfLds_half_op_CI_CI_unitstride_sbrr_R2C_dirReg, .Lfunc_end0-fft_rtc_fwd_len952_factors_17_4_2_7_wgs_204_tpt_68_halfLds_half_op_CI_CI_unitstride_sbrr_R2C_dirReg
                                        ; -- End function
	.section	.AMDGPU.csdata,"",@progbits
; Kernel info:
; codeLenInByte = 13504
; NumSgprs: 29
; NumVgprs: 172
; ScratchSize: 0
; MemoryBound: 0
; FloatMode: 240
; IeeeMode: 1
; LDSByteSize: 0 bytes/workgroup (compile time only)
; SGPRBlocks: 3
; VGPRBlocks: 21
; NumSGPRsForWavesPerEU: 29
; NumVGPRsForWavesPerEU: 172
; Occupancy: 5
; WaveLimiterHint : 1
; COMPUTE_PGM_RSRC2:SCRATCH_EN: 0
; COMPUTE_PGM_RSRC2:USER_SGPR: 6
; COMPUTE_PGM_RSRC2:TRAP_HANDLER: 0
; COMPUTE_PGM_RSRC2:TGID_X_EN: 1
; COMPUTE_PGM_RSRC2:TGID_Y_EN: 0
; COMPUTE_PGM_RSRC2:TGID_Z_EN: 0
; COMPUTE_PGM_RSRC2:TIDIG_COMP_CNT: 0
	.text
	.p2alignl 6, 3214868480
	.fill 48, 4, 3214868480
	.type	__hip_cuid_c8ac9d815360a2f8,@object ; @__hip_cuid_c8ac9d815360a2f8
	.section	.bss,"aw",@nobits
	.globl	__hip_cuid_c8ac9d815360a2f8
__hip_cuid_c8ac9d815360a2f8:
	.byte	0                               ; 0x0
	.size	__hip_cuid_c8ac9d815360a2f8, 1

	.ident	"AMD clang version 19.0.0git (https://github.com/RadeonOpenCompute/llvm-project roc-6.4.0 25133 c7fe45cf4b819c5991fe208aaa96edf142730f1d)"
	.section	".note.GNU-stack","",@progbits
	.addrsig
	.addrsig_sym __hip_cuid_c8ac9d815360a2f8
	.amdgpu_metadata
---
amdhsa.kernels:
  - .args:
      - .actual_access:  read_only
        .address_space:  global
        .offset:         0
        .size:           8
        .value_kind:     global_buffer
      - .offset:         8
        .size:           8
        .value_kind:     by_value
      - .actual_access:  read_only
        .address_space:  global
        .offset:         16
        .size:           8
        .value_kind:     global_buffer
      - .actual_access:  read_only
        .address_space:  global
        .offset:         24
        .size:           8
        .value_kind:     global_buffer
      - .actual_access:  read_only
        .address_space:  global
        .offset:         32
        .size:           8
        .value_kind:     global_buffer
      - .offset:         40
        .size:           8
        .value_kind:     by_value
      - .actual_access:  read_only
        .address_space:  global
        .offset:         48
        .size:           8
        .value_kind:     global_buffer
      - .actual_access:  read_only
        .address_space:  global
        .offset:         56
        .size:           8
        .value_kind:     global_buffer
      - .offset:         64
        .size:           4
        .value_kind:     by_value
      - .actual_access:  read_only
        .address_space:  global
        .offset:         72
        .size:           8
        .value_kind:     global_buffer
      - .actual_access:  read_only
        .address_space:  global
        .offset:         80
        .size:           8
        .value_kind:     global_buffer
      - .actual_access:  read_only
        .address_space:  global
        .offset:         88
        .size:           8
        .value_kind:     global_buffer
      - .actual_access:  write_only
        .address_space:  global
        .offset:         96
        .size:           8
        .value_kind:     global_buffer
    .group_segment_fixed_size: 0
    .kernarg_segment_align: 8
    .kernarg_segment_size: 104
    .language:       OpenCL C
    .language_version:
      - 2
      - 0
    .max_flat_workgroup_size: 204
    .name:           fft_rtc_fwd_len952_factors_17_4_2_7_wgs_204_tpt_68_halfLds_half_op_CI_CI_unitstride_sbrr_R2C_dirReg
    .private_segment_fixed_size: 0
    .sgpr_count:     29
    .sgpr_spill_count: 0
    .symbol:         fft_rtc_fwd_len952_factors_17_4_2_7_wgs_204_tpt_68_halfLds_half_op_CI_CI_unitstride_sbrr_R2C_dirReg.kd
    .uniform_work_group_size: 1
    .uses_dynamic_stack: false
    .vgpr_count:     172
    .vgpr_spill_count: 0
    .wavefront_size: 32
    .workgroup_processor_mode: 1
amdhsa.target:   amdgcn-amd-amdhsa--gfx1030
amdhsa.version:
  - 1
  - 2
...

	.end_amdgpu_metadata
